;; amdgpu-corpus repo=ROCm/rocFFT kind=compiled arch=gfx1030 opt=O3
	.text
	.amdgcn_target "amdgcn-amd-amdhsa--gfx1030"
	.amdhsa_code_object_version 6
	.protected	bluestein_single_back_len1485_dim1_half_op_CI_CI ; -- Begin function bluestein_single_back_len1485_dim1_half_op_CI_CI
	.globl	bluestein_single_back_len1485_dim1_half_op_CI_CI
	.p2align	8
	.type	bluestein_single_back_len1485_dim1_half_op_CI_CI,@function
bluestein_single_back_len1485_dim1_half_op_CI_CI: ; @bluestein_single_back_len1485_dim1_half_op_CI_CI
; %bb.0:
	s_load_dwordx4 s[16:19], s[4:5], 0x28
	v_mul_u32_u24_e32 v1, 0x18e, v0
	v_mov_b32_e32 v17, 0
	s_mov_b32 s0, exec_lo
	v_lshrrev_b32_e32 v1, 16, v1
	v_add_nc_u32_e32 v16, s6, v1
	s_waitcnt lgkmcnt(0)
	v_cmpx_gt_u64_e64 s[16:17], v[16:17]
	s_cbranch_execz .LBB0_18
; %bb.1:
	s_clause 0x1
	s_load_dwordx4 s[0:3], s[4:5], 0x18
	s_load_dwordx4 s[12:15], s[4:5], 0x0
	v_mul_lo_u16 v1, 0xa5, v1
	v_sub_nc_u16 v10, v0, v1
	v_and_b32_e32 v40, 0xffff, v10
	v_lshlrev_b32_e32 v33, 2, v40
	v_add_co_u32 v29, null, 0x14a, v40
	s_waitcnt lgkmcnt(0)
	s_load_dwordx4 s[8:11], s[0:1], 0x0
	s_clause 0x1
	global_load_dword v43, v33, s[12:13]
	global_load_dword v42, v33, s[12:13] offset:1980
	v_add_co_u32 v49, null, 0xa5, v40
	s_waitcnt lgkmcnt(0)
	v_mad_u64_u32 v[0:1], null, s10, v16, 0
	v_mad_u64_u32 v[2:3], null, s8, v40, 0
	s_mul_i32 s0, s9, 0x7bc
	s_mul_hi_u32 s1, s8, 0x7bc
	s_mul_i32 s6, s8, 0x7bc
	s_add_i32 s1, s1, s0
	v_add_co_u32 v11, s0, s12, v33
	v_mad_u64_u32 v[4:5], null, s11, v16, v[1:2]
	v_add_co_ci_u32_e64 v12, null, s13, 0, s0
	s_mul_i32 s0, s9, 0xfffff31c
	s_sub_i32 s0, s0, s8
	v_mad_u64_u32 v[5:6], null, s9, v40, v[3:4]
	v_mov_b32_e32 v1, v4
	v_lshlrev_b64 v[0:1], 2, v[0:1]
	v_mov_b32_e32 v3, v5
	v_add_co_u32 v0, vcc_lo, s18, v0
	v_lshlrev_b64 v[2:3], 2, v[2:3]
	v_add_co_ci_u32_e32 v1, vcc_lo, s19, v1, vcc_lo
	v_add_co_u32 v0, vcc_lo, v0, v2
	v_add_co_ci_u32_e32 v1, vcc_lo, v1, v3, vcc_lo
	v_add_co_u32 v2, vcc_lo, v0, s6
	v_add_co_ci_u32_e32 v3, vcc_lo, s1, v1, vcc_lo
	s_clause 0x1
	global_load_dword v13, v[0:1], off
	global_load_dword v14, v[2:3], off
	v_add_co_u32 v4, vcc_lo, v2, s6
	v_add_co_ci_u32_e32 v5, vcc_lo, s1, v3, vcc_lo
	v_add_co_u32 v8, vcc_lo, 0x800, v11
	v_add_co_ci_u32_e32 v9, vcc_lo, 0, v12, vcc_lo
	v_mad_u64_u32 v[6:7], null, 0xfffff31c, s8, v[4:5]
	global_load_dword v15, v[4:5], off
	global_load_dword v41, v[8:9], off offset:1912
	v_add_nc_u32_e32 v7, s0, v7
	v_add_co_u32 v0, vcc_lo, v6, s6
	global_load_dword v39, v33, s[12:13] offset:660
	global_load_dword v17, v[6:7], off
	v_add_co_ci_u32_e32 v1, vcc_lo, s1, v7, vcc_lo
	v_add_co_u32 v2, vcc_lo, v0, s6
	v_add_co_ci_u32_e32 v3, vcc_lo, s1, v1, vcc_lo
	v_add_co_u32 v6, vcc_lo, 0x1000, v11
	v_add_co_ci_u32_e32 v7, vcc_lo, 0, v12, vcc_lo
	v_mad_u64_u32 v[4:5], null, 0xfffff31c, s8, v[2:3]
	global_load_dword v38, v[8:9], off offset:592
	global_load_dword v11, v[0:1], off
	global_load_dword v37, v[6:7], off offset:524
	global_load_dword v12, v[2:3], off
	v_add_nc_u32_e32 v5, s0, v5
	v_add_co_u32 v0, vcc_lo, v4, s6
	v_add_co_ci_u32_e32 v1, vcc_lo, s1, v5, vcc_lo
	v_add_co_u32 v2, vcc_lo, v0, s6
	global_load_dword v4, v[4:5], off
	v_add_co_ci_u32_e32 v3, vcc_lo, s1, v1, vcc_lo
	global_load_dword v36, v33, s[12:13] offset:1320
	global_load_dword v0, v[0:1], off
	global_load_dword v1, v[2:3], off
	s_clause 0x1
	global_load_dword v35, v[8:9], off offset:1252
	global_load_dword v34, v[6:7], off offset:1184
	v_add_nc_u32_e32 v5, 0x400, v33
	v_add_nc_u32_e32 v3, 0xa00, v33
	;; [unrolled: 1-line block ×4, first 2 shown]
	s_load_dwordx4 s[8:11], s[2:3], 0x0
	s_load_dwordx2 s[2:3], s[4:5], 0x38
	v_cmp_gt_u16_e32 vcc_lo, 0x84, v10
	s_waitcnt vmcnt(15)
	v_lshrrev_b32_e32 v7, 16, v13
	s_waitcnt vmcnt(14)
	v_lshrrev_b32_e32 v6, 16, v14
	v_mul_f16_sdwa v9, v42, v14 dst_sel:DWORD dst_unused:UNUSED_PAD src0_sel:WORD_1 src1_sel:DWORD
	v_mul_f16_sdwa v18, v43, v13 dst_sel:DWORD dst_unused:UNUSED_PAD src0_sel:WORD_1 src1_sel:DWORD
	;; [unrolled: 1-line block ×4, first 2 shown]
	v_fma_f16 v6, v42, v6, -v9
	v_fma_f16 v7, v43, v7, -v18
	v_fmac_f16_e32 v20, v43, v13
	v_fmac_f16_e32 v19, v42, v14
	s_waitcnt vmcnt(13)
	v_lshrrev_b32_e32 v21, 16, v15
	s_waitcnt vmcnt(12)
	v_mul_f16_sdwa v9, v41, v15 dst_sel:DWORD dst_unused:UNUSED_PAD src0_sel:WORD_1 src1_sel:DWORD
	v_pack_b32_f16 v7, v20, v7
	v_pack_b32_f16 v6, v19, v6
	v_mul_f16_sdwa v14, v41, v21 dst_sel:DWORD dst_unused:UNUSED_PAD src0_sel:WORD_1 src1_sel:DWORD
	v_fma_f16 v9, v41, v21, -v9
	ds_write_b32 v33, v6 offset:1980
	s_waitcnt vmcnt(10)
	v_lshrrev_b32_e32 v13, 16, v17
	v_fmac_f16_e32 v14, v41, v15
	v_mul_f16_sdwa v15, v39, v17 dst_sel:DWORD dst_unused:UNUSED_PAD src0_sel:WORD_1 src1_sel:DWORD
	v_mul_f16_sdwa v6, v39, v13 dst_sel:DWORD dst_unused:UNUSED_PAD src0_sel:WORD_1 src1_sel:DWORD
	v_pack_b32_f16 v9, v14, v9
	v_fma_f16 v13, v39, v13, -v15
	v_fmac_f16_e32 v6, v39, v17
	s_waitcnt vmcnt(8)
	v_lshrrev_b32_e32 v14, 16, v11
	v_mul_f16_sdwa v18, v38, v11 dst_sel:DWORD dst_unused:UNUSED_PAD src0_sel:WORD_1 src1_sel:DWORD
	s_waitcnt vmcnt(6)
	v_lshrrev_b32_e32 v15, 16, v12
	v_pack_b32_f16 v6, v6, v13
	v_mul_f16_sdwa v17, v38, v14 dst_sel:DWORD dst_unused:UNUSED_PAD src0_sel:WORD_1 src1_sel:DWORD
	v_fma_f16 v14, v38, v14, -v18
	v_mul_f16_sdwa v18, v37, v12 dst_sel:DWORD dst_unused:UNUSED_PAD src0_sel:WORD_1 src1_sel:DWORD
	v_mul_f16_sdwa v13, v37, v15 dst_sel:DWORD dst_unused:UNUSED_PAD src0_sel:WORD_1 src1_sel:DWORD
	v_fmac_f16_e32 v17, v38, v11
	v_fma_f16 v15, v37, v15, -v18
	v_fmac_f16_e32 v13, v37, v12
	s_waitcnt vmcnt(5)
	v_lshrrev_b32_e32 v11, 16, v4
	s_waitcnt vmcnt(4)
	v_mul_f16_sdwa v18, v36, v4 dst_sel:DWORD dst_unused:UNUSED_PAD src0_sel:WORD_1 src1_sel:DWORD
	s_waitcnt vmcnt(3)
	v_lshrrev_b32_e32 v12, 16, v0
	s_waitcnt vmcnt(2)
	v_lshrrev_b32_e32 v20, 16, v1
	s_waitcnt vmcnt(0)
	v_mul_f16_sdwa v22, v34, v1 dst_sel:DWORD dst_unused:UNUSED_PAD src0_sel:WORD_1 src1_sel:DWORD
	v_mul_f16_sdwa v19, v36, v11 dst_sel:DWORD dst_unused:UNUSED_PAD src0_sel:WORD_1 src1_sel:DWORD
	v_fma_f16 v11, v36, v11, -v18
	v_mul_f16_sdwa v18, v35, v0 dst_sel:DWORD dst_unused:UNUSED_PAD src0_sel:WORD_1 src1_sel:DWORD
	v_mul_f16_sdwa v21, v35, v12 dst_sel:DWORD dst_unused:UNUSED_PAD src0_sel:WORD_1 src1_sel:DWORD
	;; [unrolled: 1-line block ×3, first 2 shown]
	v_fmac_f16_e32 v19, v36, v4
	v_fma_f16 v4, v35, v12, -v18
	v_fmac_f16_e32 v21, v35, v0
	v_fma_f16 v0, v34, v20, -v22
	v_fmac_f16_e32 v23, v34, v1
	v_pack_b32_f16 v11, v19, v11
	v_pack_b32_f16 v1, v17, v14
	;; [unrolled: 1-line block ×5, first 2 shown]
	ds_write_b32 v33, v9 offset:3960
	ds_write2_b32 v33, v7, v6 offset1:165
	ds_write_b32 v33, v11 offset:1320
	ds_write2_b32 v3, v1, v4 offset0:20 offset1:185
	ds_write2_b32 v2, v12, v0 offset0:3 offset1:168
	s_waitcnt lgkmcnt(0)
	s_barrier
	buffer_gl0_inv
	ds_read2_b32 v[1:2], v5 offset0:74 offset1:239
	ds_read2_b32 v[3:4], v3 offset0:20 offset1:185
	ds_read_b32 v5, v33 offset:5280
	ds_read2_b32 v[6:7], v33 offset1:165
	ds_read2_b32 v[8:9], v8 offset0:30 offset1:195
	v_mul_u32_u24_e32 v13, 3, v29
	v_mov_b32_e32 v0, 2
	v_mul_lo_u16 v11, v10, 3
	v_mul_u32_u24_e32 v12, 3, v49
	s_waitcnt lgkmcnt(0)
	v_lshlrev_b32_e32 v30, 2, v13
	s_barrier
	v_lshlrev_b32_sdwa v32, v0, v11 dst_sel:DWORD dst_unused:UNUSED_PAD src0_sel:DWORD src1_sel:WORD_0
	v_lshlrev_b32_e32 v31, 2, v12
	buffer_gl0_inv
                                        ; implicit-def: $vgpr19
                                        ; implicit-def: $vgpr20
	v_pk_add_f16 v11, v1, v4
	v_pk_add_f16 v14, v6, v2
	;; [unrolled: 1-line block ×3, first 2 shown]
	v_pk_add_f16 v2, v2, v8 neg_lo:[0,1] neg_hi:[0,1]
	v_pk_add_f16 v13, v7, v3
	v_pk_add_f16 v17, v3, v9
	v_pk_add_f16 v3, v3, v9 neg_lo:[0,1] neg_hi:[0,1]
	v_pk_add_f16 v12, v4, v5
	v_pk_add_f16 v4, v4, v5 neg_lo:[0,1] neg_hi:[0,1]
	v_pk_fma_f16 v6, v15, 0.5, v6 op_sel_hi:[1,0,1] neg_lo:[1,0,0] neg_hi:[1,0,0]
	v_pk_mul_f16 v2, 0x3aee, v2 op_sel_hi:[0,1]
	v_pk_fma_f16 v7, v17, 0.5, v7 op_sel_hi:[1,0,1] neg_lo:[1,0,0] neg_hi:[1,0,0]
	v_pk_mul_f16 v3, 0x3aee, v3 op_sel_hi:[0,1]
	;; [unrolled: 2-line block ×3, first 2 shown]
	v_pk_add_f16 v5, v11, v5
	v_pk_add_f16 v11, v6, v2 op_sel:[0,1] op_sel_hi:[1,0]
	v_pk_add_f16 v2, v6, v2 op_sel:[0,1] op_sel_hi:[1,0] neg_lo:[0,1] neg_hi:[0,1]
	v_pk_add_f16 v21, v7, v3 op_sel:[0,1] op_sel_hi:[1,0] neg_lo:[0,1] neg_hi:[0,1]
	v_pk_add_f16 v3, v7, v3 op_sel:[0,1] op_sel_hi:[1,0]
	v_pk_add_f16 v6, v1, v4 op_sel:[0,1] op_sel_hi:[1,0]
	v_pk_add_f16 v7, v1, v4 op_sel:[0,1] op_sel_hi:[1,0] neg_lo:[0,1] neg_hi:[0,1]
	v_pk_add_f16 v8, v14, v8
	v_bfi_b32 v1, 0xffff, v11, v2
	v_bfi_b32 v2, 0xffff, v2, v11
	v_pk_add_f16 v9, v13, v9
	v_bfi_b32 v4, 0xffff, v3, v21
	v_bfi_b32 v11, 0xffff, v21, v3
	;; [unrolled: 1-line block ×4, first 2 shown]
	ds_write2_b32 v32, v8, v1 offset1:1
	ds_write_b32 v32, v2 offset:8
	ds_write2_b32 v31, v9, v4 offset1:1
	ds_write_b32 v31, v11 offset:8
	ds_write_b32 v30, v5
	ds_write2_b32 v30, v13, v12 offset0:1 offset1:2
	s_waitcnt lgkmcnt(0)
	s_barrier
	buffer_gl0_inv
	ds_read_b32 v24, v33
	ds_read_b32 v15, v33 offset:1188
	ds_read_b32 v14, v33 offset:2376
	;; [unrolled: 1-line block ×4, first 2 shown]
	v_lshrrev_b32_e32 v50, 16, v3
	v_lshrrev_b32_e32 v17, 16, v6
	;; [unrolled: 1-line block ×3, first 2 shown]
	s_and_saveexec_b32 s0, vcc_lo
	s_cbranch_execz .LBB0_3
; %bb.2:
	ds_read_b32 v21, v33 offset:660
	ds_read_b32 v6, v33 offset:3036
	;; [unrolled: 1-line block ×5, first 2 shown]
	s_waitcnt lgkmcnt(4)
	v_lshrrev_b32_e32 v50, 16, v21
	s_waitcnt lgkmcnt(3)
	v_lshrrev_b32_e32 v18, 16, v6
	;; [unrolled: 2-line block ×4, first 2 shown]
.LBB0_3:
	s_or_b32 exec_lo, exec_lo, s0
	v_and_b32_e32 v4, 0xff, v40
	v_mov_b32_e32 v2, 0xaaab
	v_mov_b32_e32 v25, 15
	s_waitcnt lgkmcnt(1)
	v_lshrrev_b32_e32 v27, 16, v13
	v_lshrrev_b32_e32 v26, 16, v15
	v_mul_lo_u16 v1, 0xab, v4
	s_waitcnt lgkmcnt(0)
	v_lshrrev_b32_e32 v28, 16, v12
	v_lshrrev_b32_e32 v44, 16, v5
	;; [unrolled: 1-line block ×3, first 2 shown]
	v_lshrrev_b16 v22, 9, v1
	v_mul_u32_u24_sdwa v1, v49, v2 dst_sel:DWORD dst_unused:UNUSED_PAD src0_sel:WORD_0 src1_sel:DWORD
	v_mul_lo_u16 v2, v22, 3
	v_lshrrev_b32_e32 v46, 17, v1
	v_mul_u32_u24_sdwa v22, v22, v25 dst_sel:DWORD dst_unused:UNUSED_PAD src0_sel:WORD_0 src1_sel:DWORD
	v_lshrrev_b32_e32 v25, 16, v14
	v_sub_nc_u16 v1, v40, v2
	v_mul_lo_u16 v2, v46, 3
	v_and_b32_e32 v23, 0xff, v1
	v_sub_nc_u16 v47, v49, v2
	v_lshlrev_b32_e32 v1, 4, v23
	v_lshlrev_b16 v2, 2, v47
	v_add_lshl_u32 v48, v22, v23, 2
	global_load_dwordx4 v[8:11], v1, s[14:15]
	v_lshlrev_b32_sdwa v0, v0, v2 dst_sel:DWORD dst_unused:UNUSED_PAD src0_sel:DWORD src1_sel:WORD_0
	global_load_dwordx4 v[0:3], v0, s[14:15]
	s_waitcnt vmcnt(0)
	s_barrier
	buffer_gl0_inv
	v_mul_f16_sdwa v23, v15, v8 dst_sel:DWORD dst_unused:UNUSED_PAD src0_sel:DWORD src1_sel:WORD_1
	v_mul_f16_sdwa v45, v25, v9 dst_sel:DWORD dst_unused:UNUSED_PAD src0_sel:DWORD src1_sel:WORD_1
	;; [unrolled: 1-line block ×16, first 2 shown]
	v_fmac_f16_e32 v23, v26, v8
	v_fma_f16 v14, v14, v9, -v45
	v_fmac_f16_e32 v52, v25, v9
	v_fma_f16 v13, v13, v10, -v53
	v_fmac_f16_e32 v54, v27, v10
	v_fma_f16 v15, v15, v8, -v22
	v_fma_f16 v12, v12, v11, -v55
	v_fmac_f16_e32 v56, v28, v11
	v_fma_f16 v5, v5, v0, -v57
	v_fmac_f16_e32 v58, v44, v0
	;; [unrolled: 2-line block ×5, first 2 shown]
	v_add_f16_e32 v19, v14, v13
	v_add_f16_e32 v53, v51, v23
	;; [unrolled: 1-line block ×6, first 2 shown]
	v_sub_f16_e32 v26, v23, v56
	v_sub_f16_e32 v44, v52, v54
	;; [unrolled: 1-line block ×8, first 2 shown]
	v_add_f16_e32 v67, v6, v7
	v_add_f16_e32 v72, v5, v17
	;; [unrolled: 1-line block ×4, first 2 shown]
	v_fma_f16 v25, -0.5, v19, v24
	v_add_f16_e32 v19, v53, v52
	v_fma_f16 v52, -0.5, v55, v51
	v_sub_f16_e32 v57, v14, v13
	v_sub_f16_e32 v65, v54, v56
	v_add_f16_e32 v66, v21, v5
	v_fmac_f16_e32 v24, -0.5, v27
	v_fmac_f16_e32 v51, -0.5, v63
	v_sub_f16_e32 v45, v13, v12
	v_sub_f16_e32 v61, v56, v54
	;; [unrolled: 1-line block ×7, first 2 shown]
	v_add_f16_e32 v75, v50, v58
	v_sub_f16_e32 v5, v5, v17
	v_sub_f16_e32 v77, v6, v7
	v_add_f16_e32 v14, v18, v14
	v_add_f16_e32 v18, v20, v22
	v_fma_f16 v22, -0.5, v67, v21
	v_fmac_f16_e32 v21, -0.5, v72
	v_fma_f16 v53, -0.5, v76, v50
	v_fmac_f16_e32 v50, -0.5, v80
	v_fmamk_f16 v20, v26, 0x3b9c, v25
	v_fmamk_f16 v63, v15, 0xbb9c, v52
	v_add_f16_e32 v55, v23, v65
	v_add_f16_e32 v6, v66, v6
	v_fmamk_f16 v23, v44, 0xbb9c, v24
	v_fmac_f16_e32 v24, 0x3b9c, v44
	v_fmamk_f16 v66, v57, 0x3b9c, v51
	v_fmac_f16_e32 v51, 0xbb9c, v57
	v_fmac_f16_e32 v25, 0xbb9c, v26
	;; [unrolled: 1-line block ×3, first 2 shown]
	v_sub_f16_e32 v74, v7, v17
	v_sub_f16_e32 v78, v58, v60
	;; [unrolled: 1-line block ×5, first 2 shown]
	v_add_f16_e32 v45, v28, v45
	v_add_f16_e32 v59, v59, v61
	v_add_f16_e32 v61, v70, v71
	v_add_f16_e32 v60, v75, v60
	v_add_f16_e32 v13, v14, v13
	v_add_f16_e32 v14, v19, v54
	v_fmamk_f16 v27, v68, 0x3b9c, v22
	v_fmac_f16_e32 v22, 0xbb9c, v68
	v_fmamk_f16 v28, v69, 0xbb9c, v21
	v_fmac_f16_e32 v21, 0x3b9c, v69
	;; [unrolled: 2-line block ×4, first 2 shown]
	v_fmac_f16_e32 v20, 0x38b4, v44
	v_fmac_f16_e32 v63, 0xb8b4, v57
	;; [unrolled: 1-line block ×8, first 2 shown]
	v_add_f16_e32 v65, v73, v74
	v_add_f16_e32 v71, v78, v79
	;; [unrolled: 1-line block ×7, first 2 shown]
	v_fmac_f16_e32 v27, 0x38b4, v69
	v_fmac_f16_e32 v22, 0xb8b4, v69
	v_fmac_f16_e32 v28, 0x38b4, v68
	v_fmac_f16_e32 v21, 0xb8b4, v68
	v_fmac_f16_e32 v67, 0xb8b4, v77
	v_fmac_f16_e32 v53, 0x38b4, v77
	v_fmac_f16_e32 v70, 0xb8b4, v5
	v_fmac_f16_e32 v50, 0x38b4, v5
	v_fmac_f16_e32 v20, 0x34f2, v18
	v_fmac_f16_e32 v63, 0x34f2, v59
	v_fmac_f16_e32 v23, 0x34f2, v45
	v_fmac_f16_e32 v24, 0x34f2, v45
	v_fmac_f16_e32 v66, 0x34f2, v55
	v_fmac_f16_e32 v51, 0x34f2, v55
	v_fmac_f16_e32 v25, 0x34f2, v18
	v_fmac_f16_e32 v52, 0x34f2, v59
	v_add_f16_e32 v26, v6, v17
	v_add_f16_e32 v68, v7, v64
	v_fmac_f16_e32 v27, 0x34f2, v61
	v_fmac_f16_e32 v22, 0x34f2, v61
	;; [unrolled: 1-line block ×7, first 2 shown]
	v_pack_b32_f16 v5, v19, v54
	v_pack_b32_f16 v6, v20, v63
	v_fmac_f16_e32 v50, 0x34f2, v58
	v_pack_b32_f16 v7, v23, v66
	v_pack_b32_f16 v12, v24, v51
	;; [unrolled: 1-line block ×3, first 2 shown]
	ds_write2_b32 v48, v5, v6 offset1:3
	ds_write2_b32 v48, v7, v12 offset0:6 offset1:9
	ds_write_b32 v48, v13 offset:48
	s_and_saveexec_b32 s0, vcc_lo
	s_cbranch_execz .LBB0_5
; %bb.4:
	v_mad_u16 v5, v46, 15, v47
	v_mov_b32_e32 v6, 2
	v_perm_b32 v7, v68, v26, 0x5040100
	v_perm_b32 v12, v67, v27, 0x5040100
	;; [unrolled: 1-line block ×4, first 2 shown]
	v_lshlrev_b32_sdwa v5, v6, v5 dst_sel:DWORD dst_unused:UNUSED_PAD src0_sel:DWORD src1_sel:WORD_0
	v_perm_b32 v6, v50, v21, 0x5040100
	ds_write2_b32 v5, v7, v12 offset1:3
	ds_write2_b32 v5, v13, v6 offset0:6 offset1:9
	ds_write_b32 v5, v14 offset:48
.LBB0_5:
	s_or_b32 exec_lo, exec_lo, s0
	v_cmp_gt_u16_e64 s0, 0x87, v40
	s_waitcnt lgkmcnt(0)
	s_barrier
	buffer_gl0_inv
                                        ; implicit-def: $vgpr76
                                        ; implicit-def: $vgpr77
	s_and_saveexec_b32 s1, s0
	s_cbranch_execz .LBB0_7
; %bb.6:
	v_add_nc_u32_e32 v5, 0x400, v33
	v_add_nc_u32_e32 v6, 0x800, v33
	;; [unrolled: 1-line block ×3, first 2 shown]
	ds_read2_b32 v[19:20], v33 offset1:135
	ds_read2_b32 v[23:24], v5 offset0:14 offset1:149
	v_add_nc_u32_e32 v5, 0x1000, v33
	ds_read2_b32 v[25:26], v6 offset0:28 offset1:163
	ds_read2_b32 v[27:28], v7 offset0:42 offset1:177
	;; [unrolled: 1-line block ×3, first 2 shown]
	ds_read_b32 v76, v33 offset:5400
	s_waitcnt lgkmcnt(5)
	v_lshrrev_b32_e32 v54, 16, v19
	v_lshrrev_b32_e32 v63, 16, v20
	s_waitcnt lgkmcnt(4)
	v_lshrrev_b32_e32 v66, 16, v23
	v_lshrrev_b32_e32 v51, 16, v24
	;; [unrolled: 3-line block ×5, first 2 shown]
	s_waitcnt lgkmcnt(0)
	v_lshrrev_b32_e32 v77, 16, v76
.LBB0_7:
	s_or_b32 exec_lo, exec_lo, s1
	v_mul_lo_u16 v4, 0x89, v4
	v_lshrrev_b16 v45, 11, v4
	v_mul_lo_u16 v4, v45, 15
	v_sub_nc_u16 v4, v40, v4
	v_and_b32_e32 v44, 0xff, v4
	v_mad_u64_u32 v[17:18], null, v44, 40, s[14:15]
	s_clause 0x2
	global_load_dwordx4 v[12:15], v[17:18], off offset:48
	global_load_dwordx4 v[4:7], v[17:18], off offset:64
	global_load_dwordx2 v[17:18], v[17:18], off offset:80
	s_waitcnt vmcnt(0)
	s_barrier
	buffer_gl0_inv
	v_mul_f16_sdwa v69, v63, v12 dst_sel:DWORD dst_unused:UNUSED_PAD src0_sel:DWORD src1_sel:WORD_1
	v_mul_f16_sdwa v65, v20, v12 dst_sel:DWORD dst_unused:UNUSED_PAD src0_sel:DWORD src1_sel:WORD_1
	v_mul_f16_sdwa v60, v26, v4 dst_sel:DWORD dst_unused:UNUSED_PAD src0_sel:DWORD src1_sel:WORD_1
	v_mul_f16_sdwa v81, v70, v6 dst_sel:DWORD dst_unused:UNUSED_PAD src0_sel:DWORD src1_sel:WORD_1
	v_mul_f16_sdwa v84, v77, v18 dst_sel:DWORD dst_unused:UNUSED_PAD src0_sel:DWORD src1_sel:WORD_1
	v_mul_f16_sdwa v55, v76, v18 dst_sel:DWORD dst_unused:UNUSED_PAD src0_sel:DWORD src1_sel:WORD_1
	v_mul_f16_sdwa v71, v66, v13 dst_sel:DWORD dst_unused:UNUSED_PAD src0_sel:DWORD src1_sel:WORD_1
	v_mul_f16_sdwa v64, v23, v13 dst_sel:DWORD dst_unused:UNUSED_PAD src0_sel:DWORD src1_sel:WORD_1
	v_mul_f16_sdwa v79, v68, v4 dst_sel:DWORD dst_unused:UNUSED_PAD src0_sel:DWORD src1_sel:WORD_1
	v_mul_f16_sdwa v58, v28, v6 dst_sel:DWORD dst_unused:UNUSED_PAD src0_sel:DWORD src1_sel:WORD_1
	v_mul_f16_sdwa v83, v53, v17 dst_sel:DWORD dst_unused:UNUSED_PAD src0_sel:DWORD src1_sel:WORD_1
	v_mul_f16_sdwa v56, v22, v17 dst_sel:DWORD dst_unused:UNUSED_PAD src0_sel:DWORD src1_sel:WORD_1
	v_fma_f16 v75, v20, v12, -v69
	v_fmac_f16_e32 v65, v63, v12
	v_fmac_f16_e32 v60, v68, v4
	v_fma_f16 v68, v28, v6, -v81
	v_fma_f16 v28, v76, v18, -v84
	v_fmac_f16_e32 v55, v77, v18
	v_mul_f16_sdwa v72, v51, v14 dst_sel:DWORD dst_unused:UNUSED_PAD src0_sel:DWORD src1_sel:WORD_1
	v_mul_f16_sdwa v62, v24, v14 dst_sel:DWORD dst_unused:UNUSED_PAD src0_sel:DWORD src1_sel:WORD_1
	;; [unrolled: 1-line block ×6, first 2 shown]
	v_fma_f16 v74, v23, v13, -v71
	v_fmac_f16_e32 v64, v66, v13
	v_fma_f16 v63, v22, v17, -v83
	v_fmac_f16_e32 v56, v53, v17
	v_sub_f16_e32 v90, v75, v28
	v_sub_f16_e32 v76, v65, v55
	v_mul_f16_sdwa v61, v25, v15 dst_sel:DWORD dst_unused:UNUSED_PAD src0_sel:DWORD src1_sel:WORD_1
	v_mul_f16_sdwa v80, v67, v5 dst_sel:DWORD dst_unused:UNUSED_PAD src0_sel:DWORD src1_sel:WORD_1
	v_fma_f16 v73, v24, v14, -v72
	v_fmac_f16_e32 v62, v51, v14
	v_fma_f16 v72, v25, v15, -v78
	v_fmac_f16_e32 v59, v67, v5
	;; [unrolled: 2-line block ×3, first 2 shown]
	v_add_f16_e32 v20, v75, v28
	v_add_f16_e32 v22, v65, v55
	v_sub_f16_e32 v91, v74, v63
	v_sub_f16_e32 v78, v64, v56
	v_mul_f16_e32 v89, 0xb853, v76
	v_mul_f16_e32 v93, 0xb853, v90
	;; [unrolled: 1-line block ×4, first 2 shown]
	v_fmac_f16_e32 v61, v52, v15
	v_fmac_f16_e32 v58, v70, v6
	v_add_f16_e32 v21, v74, v63
	v_add_f16_e32 v23, v64, v56
	v_sub_f16_e32 v92, v73, v67
	v_sub_f16_e32 v84, v62, v57
	v_mul_f16_e32 v86, 0xbb47, v78
	v_mul_f16_e32 v88, 0xbb47, v91
	;; [unrolled: 1-line block ×4, first 2 shown]
	v_fmamk_f16 v50, v20, 0x3abb, v89
	v_fma_f16 v51, v22, 0x3abb, -v93
	v_fmamk_f16 v52, v20, 0x36a6, v102
	v_fma_f16 v53, v22, 0x36a6, -v104
	v_fma_f16 v71, v26, v4, -v79
	;; [unrolled: 1-line block ×3, first 2 shown]
	v_add_f16_e32 v24, v73, v67
	v_add_f16_e32 v26, v62, v57
	v_sub_f16_e32 v94, v72, v68
	v_sub_f16_e32 v77, v61, v58
	v_mul_f16_e32 v83, 0xbbeb, v84
	v_mul_f16_e32 v87, 0xbbeb, v92
	;; [unrolled: 1-line block ×4, first 2 shown]
	v_fmamk_f16 v106, v21, 0x36a6, v86
	v_fma_f16 v107, v23, 0x36a6, -v88
	v_fmamk_f16 v108, v21, 0xb93d, v99
	v_fma_f16 v109, v23, 0xb93d, -v103
	v_add_f16_e32 v50, v19, v50
	v_add_f16_e32 v51, v54, v51
	v_add_f16_e32 v52, v19, v52
	v_add_f16_e32 v53, v54, v53
	v_add_f16_e32 v25, v72, v68
	v_add_f16_e32 v27, v61, v58
	v_sub_f16_e32 v79, v60, v59
	v_sub_f16_e32 v105, v71, v69
	v_mul_f16_e32 v81, 0xba0c, v77
	v_mul_f16_e32 v85, 0xba0c, v94
	;; [unrolled: 1-line block ×4, first 2 shown]
	v_fmamk_f16 v110, v24, 0xb08e, v83
	v_fma_f16 v111, v26, 0xb08e, -v87
	v_fmamk_f16 v112, v24, 0xbbad, v97
	v_fma_f16 v113, v26, 0xbbad, -v101
	v_add_f16_e32 v50, v106, v50
	v_add_f16_e32 v51, v107, v51
	;; [unrolled: 1-line block ×6, first 2 shown]
	v_mul_f16_e32 v80, 0xb482, v79
	v_mul_f16_e32 v82, 0xb482, v105
	;; [unrolled: 1-line block ×4, first 2 shown]
	v_fmamk_f16 v114, v25, 0xb93d, v81
	v_fma_f16 v115, v27, 0xb93d, -v85
	v_fmamk_f16 v116, v25, 0xb08e, v95
	v_fma_f16 v117, v27, 0xb08e, -v98
	v_add_f16_e32 v50, v110, v50
	v_add_f16_e32 v51, v111, v51
	;; [unrolled: 1-line block ×4, first 2 shown]
	v_fmamk_f16 v118, v66, 0xbbad, v80
	v_fma_f16 v119, v70, 0xbbad, -v82
	v_fmamk_f16 v106, v66, 0x3abb, v96
	v_fma_f16 v107, v70, 0x3abb, -v100
	v_add_f16_e32 v50, v114, v50
	v_add_f16_e32 v51, v115, v51
	;; [unrolled: 1-line block ×8, first 2 shown]
	s_and_saveexec_b32 s1, s0
	s_cbranch_execz .LBB0_9
; %bb.8:
	v_mul_f16_e32 v106, 0xb482, v90
	v_mul_f16_e32 v110, 0x3853, v91
	;; [unrolled: 1-line block ×5, first 2 shown]
	v_fmamk_f16 v111, v22, 0xbbad, v106
	v_fmamk_f16 v115, v23, 0x3abb, v110
	;; [unrolled: 1-line block ×4, first 2 shown]
	v_mul_f16_e32 v124, 0xba0c, v90
	v_add_f16_e32 v111, v54, v111
	v_fmamk_f16 v125, v70, 0xb08e, v121
	v_mul_f16_e32 v126, 0x3853, v78
	v_mul_f16_e32 v127, 0x3beb, v91
	v_fmamk_f16 v128, v22, 0xb93d, v124
	v_add_f16_e32 v111, v115, v111
	v_mul_f16_e32 v108, 0x3abb, v22
	v_mul_f16_e32 v129, 0xba0c, v84
	v_fmamk_f16 v130, v23, 0xb08e, v127
	v_add_f16_e32 v128, v54, v128
	v_add_f16_e32 v111, v119, v111
	v_mul_f16_e32 v119, 0xb482, v76
	v_mul_f16_e32 v131, 0xb853, v92
	;; [unrolled: 1-line block ×3, first 2 shown]
	v_add_f16_e32 v93, v93, v108
	v_add_f16_e32 v111, v122, v111
	v_fma_f16 v122, v20, 0xbbad, -v119
	v_add_f16_e32 v75, v19, v75
	v_add_f16_e32 v65, v54, v65
	v_mul_f16_e32 v132, 0x3b47, v77
	v_add_f16_e32 v111, v125, v111
	v_add_f16_e32 v122, v19, v122
	v_fma_f16 v125, v21, 0x3abb, -v126
	v_add_f16_e32 v128, v130, v128
	v_fmamk_f16 v130, v26, 0x3abb, v131
	v_mul_f16_e32 v133, 0xb482, v94
	v_mul_f16_e32 v115, 0xb93d, v23
	v_add_f16_e32 v122, v125, v122
	v_fma_f16 v125, v24, 0xb93d, -v129
	v_mul_f16_e32 v123, 0xb08e, v26
	v_add_f16_e32 v93, v54, v93
	v_add_f16_e32 v74, v75, v74
	;; [unrolled: 1-line block ×5, first 2 shown]
	v_fma_f16 v125, v25, 0x36a6, -v132
	v_mul_f16_e32 v134, 0xbbeb, v79
	v_add_f16_e32 v128, v130, v128
	v_fmamk_f16 v130, v27, 0xbbad, v133
	v_mul_f16_e32 v135, 0x3b47, v105
	v_mul_f16_e32 v117, 0xb93d, v21
	v_add_f16_e32 v103, v103, v115
	v_mul_f16_e32 v115, 0xb93d, v27
	v_add_f16_e32 v73, v74, v73
	v_add_f16_e32 v65, v75, v93
	;; [unrolled: 1-line block ×5, first 2 shown]
	v_fma_f16 v125, v66, 0xb08e, -v134
	v_mul_f16_e32 v136, 0xba0c, v76
	v_add_f16_e32 v128, v130, v128
	v_fmamk_f16 v130, v70, 0x36a6, v135
	v_mul_f16_e32 v90, 0xbbeb, v90
	v_sub_f16_e32 v99, v117, v99
	v_mul_f16_e32 v117, 0xbbad, v70
	v_add_f16_e32 v72, v73, v72
	v_add_f16_e32 v65, v74, v65
	;; [unrolled: 1-line block ×5, first 2 shown]
	v_fma_f16 v125, v20, 0xb93d, -v136
	v_mul_f16_e32 v137, 0x3beb, v78
	v_add_f16_e32 v128, v130, v128
	v_fmamk_f16 v130, v22, 0xb08e, v90
	v_mul_f16_e32 v91, 0x3482, v91
	v_add_f16_e32 v65, v73, v65
	v_add_f16_e32 v60, v61, v60
	;; [unrolled: 1-line block ×4, first 2 shown]
	v_fma_f16 v138, v21, 0xb08e, -v137
	v_mul_f16_e32 v139, 0xb853, v84
	v_add_f16_e32 v130, v54, v130
	v_fmamk_f16 v140, v23, 0xbbad, v91
	v_mul_f16_e32 v92, 0x3b47, v92
	v_mul_f16_e32 v107, 0x3abb, v20
	v_add_f16_e32 v59, v60, v59
	v_add_f16_e32 v60, v61, v65
	v_fma_f16 v61, v22, 0xbbad, -v106
	v_add_f16_e32 v125, v138, v125
	v_fma_f16 v138, v24, 0x3abb, -v139
	v_mul_f16_e32 v141, 0xb482, v77
	v_add_f16_e32 v130, v140, v130
	v_fmamk_f16 v140, v26, 0x36a6, v92
	v_mul_f16_e32 v94, 0xb853, v94
	v_mul_f16_e32 v112, 0x36a6, v22
	;; [unrolled: 1-line block ×3, first 2 shown]
	v_sub_f16_e32 v89, v107, v89
	v_add_f16_e32 v58, v59, v58
	v_fmac_f16_e32 v119, 0xbbad, v20
	v_add_f16_e32 v59, v54, v61
	v_fma_f16 v61, v23, 0x3abb, -v110
	v_add_f16_e32 v125, v138, v125
	v_fma_f16 v138, v25, 0xbbad, -v141
	v_mul_f16_e32 v142, 0x3b47, v79
	v_add_f16_e32 v130, v140, v130
	v_fmamk_f16 v140, v27, 0x3abb, v94
	v_mul_f16_e32 v105, 0xba0c, v105
	v_mul_f16_e32 v76, 0xbbeb, v76
	;; [unrolled: 1-line block ×3, first 2 shown]
	v_add_f16_e32 v104, v104, v112
	v_add_f16_e32 v88, v19, v89
	v_sub_f16_e32 v86, v113, v86
	v_add_f16_e32 v57, v58, v57
	v_add_f16_e32 v58, v19, v119
	v_fmac_f16_e32 v126, 0x3abb, v21
	v_add_f16_e32 v59, v61, v59
	v_fma_f16 v61, v26, 0xb93d, -v114
	v_mul_f16_e32 v109, 0x36a6, v20
	v_add_f16_e32 v125, v138, v125
	v_fma_f16 v138, v66, 0x36a6, -v142
	v_add_f16_e32 v130, v140, v130
	v_fmamk_f16 v140, v70, 0xb93d, v105
	v_fma_f16 v143, v20, 0xb08e, -v76
	v_mul_f16_e32 v78, 0x3482, v78
	v_mul_f16_e32 v112, 0xb93d, v25
	v_add_f16_e32 v104, v54, v104
	v_add_f16_e32 v75, v86, v88
	v_sub_f16_e32 v64, v120, v83
	v_add_f16_e32 v71, v72, v71
	v_add_f16_e32 v56, v57, v56
	;; [unrolled: 1-line block ×3, first 2 shown]
	v_fmac_f16_e32 v129, 0xb93d, v24
	v_add_f16_e32 v58, v61, v59
	v_fma_f16 v59, v27, 0x36a6, -v118
	v_fma_f16 v61, v22, 0xb93d, -v124
	v_add_f16_e32 v125, v138, v125
	v_add_f16_e32 v130, v140, v130
	;; [unrolled: 1-line block ×3, first 2 shown]
	v_fma_f16 v140, v21, 0xbbad, -v78
	v_mul_f16_e32 v84, 0x3b47, v84
	v_sub_f16_e32 v102, v109, v102
	v_add_f16_e32 v103, v103, v104
	v_mul_f16_e32 v104, 0xbbad, v66
	v_add_f16_e32 v62, v64, v75
	v_sub_f16_e32 v64, v112, v81
	v_add_f16_e32 v69, v71, v69
	v_fma_f16 v22, v22, 0xb08e, -v90
	v_add_f16_e32 v55, v56, v55
	v_add_f16_e32 v56, v129, v57
	;; [unrolled: 1-line block ×4, first 2 shown]
	v_fma_f16 v61, v70, 0xb08e, -v121
	v_fmac_f16_e32 v136, 0xb93d, v20
	v_fmac_f16_e32 v76, 0xb08e, v20
	v_mul_f16_e32 v144, 0xbbad, v24
	v_mul_f16_e32 v143, 0xbbad, v26
	v_add_f16_e32 v138, v140, v138
	v_fma_f16 v140, v24, 0x36a6, -v84
	v_add_f16_e32 v102, v19, v102
	v_add_f16_e32 v62, v64, v62
	v_sub_f16_e32 v64, v104, v80
	v_add_f16_e32 v68, v69, v68
	v_fma_f16 v59, v23, 0xb08e, -v127
	v_add_f16_e32 v22, v54, v22
	v_fma_f16 v23, v23, 0xbbad, -v91
	v_add_f16_e32 v57, v61, v57
	v_add_f16_e32 v61, v19, v136
	v_fmac_f16_e32 v137, 0xb08e, v21
	v_add_f16_e32 v19, v19, v76
	v_fmac_f16_e32 v78, 0xbbad, v21
	v_mul_f16_e32 v109, 0xb08e, v25
	v_add_f16_e32 v138, v140, v138
	v_mul_f16_e32 v140, 0xb08e, v27
	v_mul_f16_e32 v77, 0xb853, v77
	v_add_f16_e32 v101, v101, v143
	v_add_f16_e32 v99, v99, v102
	v_sub_f16_e32 v97, v144, v97
	v_add_f16_e32 v62, v64, v62
	v_add_f16_e32 v64, v68, v67
	;; [unrolled: 1-line block ×3, first 2 shown]
	v_fma_f16 v22, v26, 0x36a6, -v92
	v_add_f16_e32 v58, v59, v58
	v_fma_f16 v59, v26, 0x3abb, -v131
	v_add_f16_e32 v61, v137, v61
	v_fmac_f16_e32 v139, 0x3abb, v24
	v_add_f16_e32 v19, v78, v19
	v_fmac_f16_e32 v84, 0x36a6, v24
	v_mul_f16_e32 v143, 0x3abb, v66
	v_mul_f16_e32 v102, 0x3abb, v70
	v_fma_f16 v144, v25, 0x3abb, -v77
	v_mul_f16_e32 v79, 0xba0c, v79
	v_add_f16_e32 v101, v101, v103
	v_add_f16_e32 v98, v98, v140
	;; [unrolled: 1-line block ×3, first 2 shown]
	v_sub_f16_e32 v95, v109, v95
	v_add_f16_e32 v63, v64, v63
	v_add_f16_e32 v21, v22, v21
	v_mov_b32_e32 v22, 0xa5
	v_fmac_f16_e32 v132, 0x36a6, v25
	v_add_f16_e32 v58, v59, v58
	v_fma_f16 v59, v27, 0xbbad, -v133
	v_add_f16_e32 v54, v139, v61
	v_fmac_f16_e32 v141, 0xbbad, v25
	v_fma_f16 v26, v27, 0x3abb, -v94
	v_add_f16_e32 v19, v84, v19
	v_fmac_f16_e32 v77, 0x3abb, v25
	v_add_f16_e32 v99, v144, v138
	v_fma_f16 v103, v66, 0xb93d, -v79
	v_add_f16_e32 v98, v98, v101
	v_add_f16_e32 v100, v100, v102
	;; [unrolled: 1-line block ×3, first 2 shown]
	v_sub_f16_e32 v96, v143, v96
	v_add_f16_e32 v28, v63, v28
	v_mul_u32_u24_sdwa v22, v45, v22 dst_sel:DWORD dst_unused:UNUSED_PAD src0_sel:WORD_0 src1_sel:DWORD
	v_add_f16_e32 v56, v132, v56
	v_fmac_f16_e32 v134, 0xb08e, v66
	v_add_f16_e32 v20, v59, v58
	v_fma_f16 v23, v70, 0x36a6, -v135
	v_add_f16_e32 v24, v141, v54
	v_fmac_f16_e32 v142, 0x36a6, v66
	v_add_f16_e32 v21, v26, v21
	v_fma_f16 v25, v70, 0xb93d, -v105
	v_add_f16_e32 v19, v77, v19
	v_fmac_f16_e32 v79, 0xb93d, v66
	v_add_f16_e32 v97, v103, v99
	v_add_f16_e32 v98, v100, v98
	;; [unrolled: 1-line block ×3, first 2 shown]
	v_add_lshl_u32 v22, v22, v44, 2
	v_pack_b32_f16 v26, v28, v55
	v_pack_b32_f16 v27, v62, v60
	v_add_f16_e32 v56, v134, v56
	v_add_f16_e32 v20, v23, v20
	v_add_f16_e32 v23, v142, v24
	v_add_f16_e32 v21, v25, v21
	v_add_f16_e32 v19, v79, v19
	v_pack_b32_f16 v24, v95, v98
	v_pack_b32_f16 v25, v97, v130
	ds_write2_b32 v22, v26, v27 offset1:15
	v_pack_b32_f16 v26, v125, v128
	v_pack_b32_f16 v27, v122, v111
	;; [unrolled: 1-line block ×5, first 2 shown]
	v_perm_b32 v21, v53, v52, 0x5040100
	v_perm_b32 v23, v51, v50, 0x5040100
	ds_write2_b32 v22, v24, v25 offset0:30 offset1:45
	ds_write2_b32 v22, v26, v27 offset0:60 offset1:75
	;; [unrolled: 1-line block ×4, first 2 shown]
	ds_write_b32 v22, v23 offset:600
.LBB0_9:
	s_or_b32 exec_lo, exec_lo, s1
	v_mov_b32_e32 v19, 0x8d31
	v_lshlrev_b32_e32 v59, 3, v40
	s_waitcnt lgkmcnt(0)
	s_barrier
	buffer_gl0_inv
	v_mul_u32_u24_sdwa v19, v29, v19 dst_sel:DWORD dst_unused:UNUSED_PAD src0_sel:WORD_0 src1_sel:DWORD
	global_load_dwordx2 v[21:22], v59, s[14:15] offset:648
	v_add_nc_u32_e32 v55, 0x400, v33
	v_add_nc_u32_e32 v54, 0xf00, v33
	;; [unrolled: 1-line block ×3, first 2 shown]
	v_lshrrev_b32_e32 v19, 16, v19
	ds_read2_b32 v[23:24], v33 offset1:165
	v_mov_b32_e32 v62, 2
	v_lshlrev_b32_e32 v63, 3, v49
	v_sub_nc_u16 v20, v29, v19
	v_lshrrev_b16 v20, 1, v20
	v_add_nc_u16 v19, v20, v19
	v_lshrrev_b16 v19, 7, v19
	s_waitcnt lgkmcnt(0)
	v_lshrrev_b32_e32 v64, 16, v23
	v_lshrrev_b32_e32 v65, 16, v24
	v_mul_lo_u16 v19, 0xa5, v19
	v_sub_nc_u16 v60, v29, v19
	v_lshlrev_b16 v19, 3, v60
	v_lshlrev_b32_sdwa v49, v62, v60 dst_sel:DWORD dst_unused:UNUSED_PAD src0_sel:DWORD src1_sel:WORD_0
	v_and_b32_e32 v19, 0xffff, v19
	v_add_nc_u32_e32 v71, 0xf00, v49
	v_add_co_u32 v19, s1, s14, v19
	v_add_co_ci_u32_e64 v20, null, s15, 0, s1
	global_load_dwordx2 v[19:20], v[19:20], off offset:648
	ds_read_b32 v61, v33 offset:5280
	ds_read2_b32 v[25:26], v55 offset0:74 offset1:239
	ds_read2_b32 v[27:28], v54 offset0:30 offset1:195
	;; [unrolled: 1-line block ×3, first 2 shown]
	s_waitcnt vmcnt(0) lgkmcnt(0)
	s_barrier
	buffer_gl0_inv
	v_lshrrev_b32_e32 v66, 16, v61
	v_lshrrev_b32_e32 v67, 16, v26
	v_lshrrev_b32_e32 v68, 16, v27
	v_lshrrev_b32_e32 v60, 16, v57
	v_lshrrev_b32_e32 v62, 16, v28
	v_lshrrev_b32_e32 v70, 16, v58
	v_lshrrev_b32_e32 v69, 16, v25
	v_mul_f16_sdwa v72, v67, v21 dst_sel:DWORD dst_unused:UNUSED_PAD src0_sel:DWORD src1_sel:WORD_1
	v_mul_f16_sdwa v73, v26, v21 dst_sel:DWORD dst_unused:UNUSED_PAD src0_sel:DWORD src1_sel:WORD_1
	;; [unrolled: 1-line block ×8, first 2 shown]
	v_fma_f16 v26, v26, v21, -v72
	v_fmac_f16_e32 v73, v67, v21
	v_fmac_f16_e32 v77, v60, v21
	;; [unrolled: 1-line block ×3, first 2 shown]
	v_fma_f16 v27, v27, v22, -v74
	v_fmac_f16_e32 v75, v68, v22
	v_fma_f16 v57, v57, v21, -v76
	v_fma_f16 v28, v28, v22, -v78
	v_add_f16_e32 v60, v23, v26
	v_add_f16_e32 v68, v64, v73
	v_sub_f16_e32 v76, v77, v79
	v_add_f16_e32 v78, v65, v77
	v_add_f16_e32 v77, v77, v79
	;; [unrolled: 1-line block ×3, first 2 shown]
	v_sub_f16_e32 v67, v73, v75
	v_add_f16_e32 v72, v73, v75
	v_sub_f16_e32 v26, v26, v27
	v_add_f16_e32 v73, v24, v57
	v_add_f16_e32 v74, v57, v28
	v_sub_f16_e32 v57, v57, v28
	v_add_f16_e32 v27, v60, v27
	v_add_f16_e32 v60, v68, v75
	v_fmac_f16_e32 v65, -0.5, v77
	v_fma_f16 v23, -0.5, v62, v23
	v_fmac_f16_e32 v64, -0.5, v72
	v_add_f16_e32 v28, v73, v28
	v_fmac_f16_e32 v24, -0.5, v74
	v_fmamk_f16 v72, v57, 0xbaee, v65
	v_fmac_f16_e32 v65, 0x3aee, v57
	v_pack_b32_f16 v27, v27, v60
	v_fmamk_f16 v68, v67, 0x3aee, v23
	v_fmac_f16_e32 v23, 0xbaee, v67
	v_fmamk_f16 v67, v26, 0xbaee, v64
	v_fmac_f16_e32 v64, 0x3aee, v26
	v_add_f16_e32 v62, v78, v79
	v_fmamk_f16 v26, v76, 0x3aee, v24
	v_fmac_f16_e32 v24, 0xbaee, v76
	v_pack_b32_f16 v23, v23, v64
	v_pack_b32_f16 v28, v28, v62
	;; [unrolled: 1-line block ×4, first 2 shown]
	v_mul_f16_sdwa v57, v70, v19 dst_sel:DWORD dst_unused:UNUSED_PAD src0_sel:DWORD src1_sel:WORD_1
	v_mul_f16_sdwa v60, v66, v20 dst_sel:DWORD dst_unused:UNUSED_PAD src0_sel:DWORD src1_sel:WORD_1
	;; [unrolled: 1-line block ×4, first 2 shown]
	v_fma_f16 v57, v58, v19, -v57
	v_fma_f16 v58, v61, v20, -v60
	v_fmac_f16_e32 v73, v70, v19
	v_fmac_f16_e32 v74, v66, v20
	v_pack_b32_f16 v60, v68, v67
	v_add_f16_e32 v62, v25, v57
	v_add_f16_e32 v61, v57, v58
	;; [unrolled: 1-line block ×4, first 2 shown]
	v_sub_f16_e32 v66, v73, v74
	v_sub_f16_e32 v57, v57, v58
	v_fmac_f16_e32 v25, -0.5, v61
	v_add_f16_e32 v58, v62, v58
	v_fmac_f16_e32 v69, -0.5, v64
	v_add_f16_e32 v61, v67, v74
	v_fmamk_f16 v62, v66, 0x3aee, v25
	v_fmac_f16_e32 v25, 0xbaee, v66
	v_fmamk_f16 v64, v57, 0xbaee, v69
	v_fmac_f16_e32 v69, 0x3aee, v57
	v_pack_b32_f16 v57, v58, v61
	v_pack_b32_f16 v58, v62, v64
	;; [unrolled: 1-line block ×3, first 2 shown]
	ds_write2_b32 v33, v27, v60 offset1:165
	ds_write2_b32 v55, v23, v28 offset0:74 offset1:239
	ds_write2_b32 v56, v26, v24 offset0:20 offset1:185
	;; [unrolled: 1-line block ×3, first 2 shown]
	ds_write_b32 v49, v25 offset:5280
	s_waitcnt lgkmcnt(0)
	s_barrier
	buffer_gl0_inv
	global_load_dwordx2 v[27:28], v59, s[14:15] offset:1968
	v_lshlrev_b32_e32 v23, 3, v29
	s_clause 0x1
	global_load_dwordx2 v[25:26], v63, s[14:15] offset:1968
	global_load_dwordx2 v[23:24], v23, s[14:15] offset:1968
	ds_read2_b32 v[57:58], v33 offset1:165
	ds_read2_b32 v[59:60], v55 offset0:74 offset1:239
	ds_read2_b32 v[61:62], v54 offset0:30 offset1:195
	;; [unrolled: 1-line block ×3, first 2 shown]
	ds_read_b32 v67, v33 offset:5280
	v_lshlrev_b32_e32 v29, 2, v40
	v_add_nc_u32_e32 v69, 0x1200, v33
	v_add_co_u32 v29, s1, s12, v29
	v_add_co_ci_u32_e64 v68, null, s13, 0, s1
	v_add_co_u32 v65, s1, 0x1000, v29
	v_add_co_ci_u32_e64 v66, s1, 0, v68, s1
	s_waitcnt lgkmcnt(4)
	v_lshrrev_b32_e32 v70, 16, v57
	s_waitcnt lgkmcnt(3)
	v_lshrrev_b32_e32 v71, 16, v60
	;; [unrolled: 2-line block ×4, first 2 shown]
	v_lshrrev_b32_e32 v75, 16, v62
	v_lshrrev_b32_e32 v77, 16, v64
	s_waitcnt lgkmcnt(0)
	v_lshrrev_b32_e32 v78, 16, v67
	v_lshrrev_b32_e32 v76, 16, v59
	;; [unrolled: 1-line block ×3, first 2 shown]
	s_waitcnt vmcnt(2)
	v_mul_f16_sdwa v79, v71, v27 dst_sel:DWORD dst_unused:UNUSED_PAD src0_sel:DWORD src1_sel:WORD_1
	v_mul_f16_sdwa v80, v60, v27 dst_sel:DWORD dst_unused:UNUSED_PAD src0_sel:DWORD src1_sel:WORD_1
	v_mul_f16_sdwa v81, v72, v28 dst_sel:DWORD dst_unused:UNUSED_PAD src0_sel:DWORD src1_sel:WORD_1
	v_mul_f16_sdwa v82, v61, v28 dst_sel:DWORD dst_unused:UNUSED_PAD src0_sel:DWORD src1_sel:WORD_1
	s_waitcnt vmcnt(1)
	v_mul_f16_sdwa v83, v74, v25 dst_sel:DWORD dst_unused:UNUSED_PAD src0_sel:DWORD src1_sel:WORD_1
	v_mul_f16_sdwa v84, v63, v25 dst_sel:DWORD dst_unused:UNUSED_PAD src0_sel:DWORD src1_sel:WORD_1
	v_mul_f16_sdwa v85, v75, v26 dst_sel:DWORD dst_unused:UNUSED_PAD src0_sel:DWORD src1_sel:WORD_1
	v_mul_f16_sdwa v86, v62, v26 dst_sel:DWORD dst_unused:UNUSED_PAD src0_sel:DWORD src1_sel:WORD_1
	;; [unrolled: 5-line block ×3, first 2 shown]
	v_fma_f16 v60, v60, v27, -v79
	v_fmac_f16_e32 v80, v71, v27
	v_fma_f16 v61, v61, v28, -v81
	v_fmac_f16_e32 v82, v72, v28
	;; [unrolled: 2-line block ×6, first 2 shown]
	v_add_f16_e32 v72, v60, v61
	v_add_f16_e32 v77, v80, v82
	;; [unrolled: 1-line block ×5, first 2 shown]
	v_sub_f16_e32 v87, v88, v90
	v_add_f16_e32 v89, v76, v88
	v_add_f16_e32 v88, v88, v90
	;; [unrolled: 1-line block ×3, first 2 shown]
	v_sub_f16_e32 v74, v80, v82
	v_add_f16_e32 v75, v70, v80
	v_sub_f16_e32 v60, v60, v61
	v_sub_f16_e32 v80, v84, v86
	v_add_f16_e32 v81, v73, v84
	v_add_f16_e32 v84, v59, v64
	v_fma_f16 v57, -0.5, v72, v57
	v_fmac_f16_e32 v70, -0.5, v77
	v_add_f16_e32 v78, v58, v63
	v_sub_f16_e32 v63, v63, v62
	v_sub_f16_e32 v64, v64, v67
	v_fmac_f16_e32 v58, -0.5, v79
	v_fmac_f16_e32 v73, -0.5, v83
	;; [unrolled: 1-line block ×4, first 2 shown]
	v_add_f16_e32 v61, v71, v61
	v_add_f16_e32 v71, v75, v82
	;; [unrolled: 1-line block ×4, first 2 shown]
	v_fmamk_f16 v77, v74, 0x3aee, v57
	v_fmac_f16_e32 v57, 0xbaee, v74
	v_fmamk_f16 v74, v60, 0xbaee, v70
	v_fmac_f16_e32 v70, 0x3aee, v60
	v_add_f16_e32 v62, v78, v62
	v_add_f16_e32 v72, v81, v86
	v_fmamk_f16 v60, v80, 0x3aee, v58
	v_fmamk_f16 v78, v63, 0xbaee, v73
	v_fmac_f16_e32 v73, 0x3aee, v63
	v_fmamk_f16 v63, v87, 0x3aee, v59
	v_fmamk_f16 v79, v64, 0xbaee, v76
	v_fmac_f16_e32 v58, 0xbaee, v80
	v_fmac_f16_e32 v59, 0xbaee, v87
	;; [unrolled: 1-line block ×3, first 2 shown]
	v_pack_b32_f16 v64, v67, v75
	v_pack_b32_f16 v67, v77, v74
	;; [unrolled: 1-line block ×9, first 2 shown]
	ds_write_b32 v33, v67 offset:1980
	ds_write_b32 v33, v57 offset:3960
	ds_write2_b32 v33, v61, v62 offset1:165
	ds_write_b32 v33, v64 offset:1320
	ds_write2_b32 v56, v60, v63 offset0:20 offset1:185
	ds_write2_b32 v69, v58, v59 offset0:3 offset1:168
	s_waitcnt lgkmcnt(0)
	s_barrier
	buffer_gl0_inv
	global_load_dword v63, v[65:66], off offset:1844
	v_add_co_u32 v57, s1, 0x1734, v29
	v_add_co_ci_u32_e64 v58, s1, 0, v68, s1
	v_add_co_u32 v59, s1, 0x2800, v29
	v_add_co_ci_u32_e64 v60, s1, 0, v68, s1
	s_clause 0x1
	global_load_dword v65, v[57:58], off offset:660
	global_load_dword v66, v[59:60], off offset:980
	v_add_co_u32 v61, s1, 0x2000, v29
	v_add_co_ci_u32_e64 v62, s1, 0, v68, s1
	s_clause 0x5
	global_load_dword v29, v[61:62], off offset:388
	global_load_dword v67, v[59:60], off offset:320
	;; [unrolled: 1-line block ×6, first 2 shown]
	ds_read2_b32 v[57:58], v33 offset1:165
	ds_read_b32 v73, v33 offset:5280
	s_waitcnt lgkmcnt(1)
	v_lshrrev_b32_e32 v59, 16, v57
	s_waitcnt lgkmcnt(0)
	v_lshrrev_b32_e32 v74, 16, v73
	s_waitcnt vmcnt(8)
	v_mul_f16_sdwa v60, v59, v63 dst_sel:DWORD dst_unused:UNUSED_PAD src0_sel:DWORD src1_sel:WORD_1
	v_mul_f16_sdwa v61, v57, v63 dst_sel:DWORD dst_unused:UNUSED_PAD src0_sel:DWORD src1_sel:WORD_1
	v_fma_f16 v57, v57, v63, -v60
	v_fmac_f16_e32 v61, v59, v63
	s_waitcnt vmcnt(7)
	v_mul_f16_sdwa v76, v58, v65 dst_sel:DWORD dst_unused:UNUSED_PAD src0_sel:DWORD src1_sel:WORD_1
	v_pack_b32_f16 v57, v57, v61
	s_waitcnt vmcnt(6)
	v_mul_f16_sdwa v77, v74, v66 dst_sel:DWORD dst_unused:UNUSED_PAD src0_sel:DWORD src1_sel:WORD_1
	v_mul_f16_sdwa v78, v73, v66 dst_sel:DWORD dst_unused:UNUSED_PAD src0_sel:DWORD src1_sel:WORD_1
	ds_write_b32 v33, v57
	ds_read2_b32 v[59:60], v55 offset0:74 offset1:239
	ds_read2_b32 v[61:62], v54 offset0:30 offset1:195
	ds_read2_b32 v[63:64], v56 offset0:20 offset1:185
	v_lshrrev_b32_e32 v57, 16, v58
	v_fmac_f16_e32 v78, v74, v66
	v_mul_f16_sdwa v75, v57, v65 dst_sel:DWORD dst_unused:UNUSED_PAD src0_sel:DWORD src1_sel:WORD_1
	v_fmac_f16_e32 v76, v57, v65
	v_fma_f16 v57, v73, v66, -v77
	v_add_nc_u32_e32 v66, 0x200, v33
	v_add_nc_u32_e32 v73, 0xc00, v33
	v_fma_f16 v58, v58, v65, -v75
	v_add_nc_u32_e32 v65, 0x700, v33
	v_pack_b32_f16 v57, v57, v78
	v_pack_b32_f16 v58, v58, v76
	s_waitcnt lgkmcnt(2)
	v_lshrrev_b32_e32 v74, 16, v60
	s_waitcnt vmcnt(2)
	v_mul_f16_sdwa v75, v60, v70 dst_sel:DWORD dst_unused:UNUSED_PAD src0_sel:DWORD src1_sel:WORD_1
	s_waitcnt lgkmcnt(1)
	v_lshrrev_b32_e32 v76, 16, v61
	s_waitcnt vmcnt(1)
	v_mul_f16_sdwa v77, v61, v71 dst_sel:DWORD dst_unused:UNUSED_PAD src0_sel:DWORD src1_sel:WORD_1
	s_waitcnt lgkmcnt(0)
	v_lshrrev_b32_e32 v78, 16, v63
	v_mul_f16_sdwa v79, v63, v29 dst_sel:DWORD dst_unused:UNUSED_PAD src0_sel:DWORD src1_sel:WORD_1
	v_lshrrev_b32_e32 v80, 16, v62
	v_mul_f16_sdwa v81, v62, v67 dst_sel:DWORD dst_unused:UNUSED_PAD src0_sel:DWORD src1_sel:WORD_1
	v_lshrrev_b32_e32 v82, 16, v59
	s_waitcnt vmcnt(0)
	v_mul_f16_sdwa v83, v59, v72 dst_sel:DWORD dst_unused:UNUSED_PAD src0_sel:DWORD src1_sel:WORD_1
	v_lshrrev_b32_e32 v84, 16, v64
	v_mul_f16_sdwa v86, v74, v70 dst_sel:DWORD dst_unused:UNUSED_PAD src0_sel:DWORD src1_sel:WORD_1
	v_fmac_f16_e32 v75, v74, v70
	v_mul_f16_sdwa v74, v76, v71 dst_sel:DWORD dst_unused:UNUSED_PAD src0_sel:DWORD src1_sel:WORD_1
	v_fmac_f16_e32 v77, v76, v71
	;; [unrolled: 2-line block ×4, first 2 shown]
	v_mul_f16_sdwa v80, v82, v72 dst_sel:DWORD dst_unused:UNUSED_PAD src0_sel:DWORD src1_sel:WORD_1
	v_mul_f16_sdwa v85, v64, v68 dst_sel:DWORD dst_unused:UNUSED_PAD src0_sel:DWORD src1_sel:WORD_1
	v_fmac_f16_e32 v83, v82, v72
	v_mul_f16_sdwa v82, v84, v68 dst_sel:DWORD dst_unused:UNUSED_PAD src0_sel:DWORD src1_sel:WORD_1
	v_fma_f16 v60, v60, v70, -v86
	v_fma_f16 v29, v63, v29, -v76
	;; [unrolled: 1-line block ×3, first 2 shown]
	v_fmac_f16_e32 v85, v84, v68
	v_fma_f16 v61, v61, v71, -v74
	v_fma_f16 v63, v64, v68, -v82
	v_fma_f16 v62, v62, v67, -v78
	v_pack_b32_f16 v60, v60, v75
	v_pack_b32_f16 v29, v29, v79
	;; [unrolled: 1-line block ×6, first 2 shown]
	ds_write2_b32 v65, v60, v29 offset0:47 offset1:212
	ds_write2_b32 v66, v58, v59 offset0:37 offset1:202
	;; [unrolled: 1-line block ×4, first 2 shown]
	s_waitcnt lgkmcnt(0)
	s_barrier
	buffer_gl0_inv
	ds_read2_b32 v[58:59], v55 offset0:74 offset1:239
	ds_read2_b32 v[55:56], v56 offset0:20 offset1:185
	ds_read_b32 v29, v33 offset:5280
	ds_read2_b32 v[60:61], v33 offset1:165
	ds_read2_b32 v[62:63], v54 offset0:30 offset1:195
	s_waitcnt lgkmcnt(0)
	s_barrier
	buffer_gl0_inv
	v_pk_add_f16 v54, v58, v56
	v_pk_add_f16 v64, v56, v29
	v_pk_add_f16 v66, v60, v59
	v_pk_add_f16 v67, v59, v62
	v_pk_add_f16 v59, v59, v62 neg_lo:[0,1] neg_hi:[0,1]
	v_pk_add_f16 v65, v56, v29 neg_lo:[0,1] neg_hi:[0,1]
	v_pk_add_f16 v56, v61, v55
	v_pk_add_f16 v68, v55, v63
	v_pk_add_f16 v55, v55, v63 neg_lo:[0,1] neg_hi:[0,1]
	v_pk_add_f16 v57, v54, v29
	v_pk_fma_f16 v54, v64, 0.5, v58 op_sel_hi:[1,0,1] neg_lo:[1,0,0] neg_hi:[1,0,0]
	v_pk_fma_f16 v29, v67, 0.5, v60 op_sel_hi:[1,0,1] neg_lo:[1,0,0] neg_hi:[1,0,0]
	v_pk_mul_f16 v58, 0x3aee, v59 op_sel_hi:[0,1]
	v_pk_fma_f16 v59, v68, 0.5, v61 op_sel_hi:[1,0,1] neg_lo:[1,0,0] neg_hi:[1,0,0]
	v_pk_mul_f16 v55, 0x3aee, v55 op_sel_hi:[0,1]
	v_pk_add_f16 v60, v56, v63
	v_pk_add_f16 v61, v66, v62
	v_pk_add_f16 v62, v29, v58 op_sel:[0,1] op_sel_hi:[1,0] neg_lo:[0,1] neg_hi:[0,1]
	v_pk_add_f16 v63, v29, v58 op_sel:[0,1] op_sel_hi:[1,0]
	v_pk_add_f16 v29, v59, v55 op_sel:[0,1] op_sel_hi:[1,0]
	v_pk_add_f16 v55, v59, v55 op_sel:[0,1] op_sel_hi:[1,0] neg_lo:[0,1] neg_hi:[0,1]
	v_pk_fma_f16 v56, 0x3aee, v65, v54 op_sel:[0,0,1] op_sel_hi:[0,1,0] neg_lo:[0,1,0] neg_hi:[0,1,0]
	v_pk_fma_f16 v58, 0x3aee, v65, v54 op_sel:[0,0,1] op_sel_hi:[0,1,0]
	v_bfi_b32 v54, 0xffff, v62, v63
	v_bfi_b32 v59, 0xffff, v63, v62
	;; [unrolled: 1-line block ×4, first 2 shown]
	v_alignbit_b32 v64, v56, v58, 16
	v_alignbit_b32 v65, v58, v56, 16
	ds_write2_b32 v32, v61, v54 offset1:1
	ds_write_b32 v32, v59 offset:8
	ds_write2_b32 v31, v60, v62 offset1:1
	ds_write_b32 v31, v63 offset:8
	ds_write_b32 v30, v57
	ds_write2_b32 v30, v65, v64 offset0:1 offset1:2
	s_waitcnt lgkmcnt(0)
	s_barrier
	buffer_gl0_inv
	ds_read_b32 v32, v33
	ds_read_b32 v60, v33 offset:1188
	ds_read_b32 v61, v33 offset:2376
	;; [unrolled: 1-line block ×4, first 2 shown]
	v_lshrrev_b32_e32 v30, 16, v56
	v_lshrrev_b32_e32 v54, 16, v55
	s_and_saveexec_b32 s1, vcc_lo
	s_cbranch_execz .LBB0_11
; %bb.10:
	ds_read_b32 v29, v33 offset:660
	ds_read_b32 v55, v33 offset:4224
	;; [unrolled: 1-line block ×5, first 2 shown]
	s_waitcnt lgkmcnt(4)
	v_lshrrev_b32_e32 v54, 16, v29
	s_waitcnt lgkmcnt(3)
	v_lshrrev_b32_e32 v56, 16, v55
	;; [unrolled: 2-line block ×3, first 2 shown]
	s_waitcnt lgkmcnt(1)
	v_alignbit_b32 v58, v55, v30, 16
.LBB0_11:
	s_or_b32 exec_lo, exec_lo, s1
	s_waitcnt lgkmcnt(3)
	v_lshrrev_b32_e32 v62, 16, v60
	s_waitcnt lgkmcnt(2)
	v_lshrrev_b32_e32 v63, 16, v61
	;; [unrolled: 2-line block ×3, first 2 shown]
	v_mul_f16_sdwa v65, v8, v60 dst_sel:DWORD dst_unused:UNUSED_PAD src0_sel:WORD_1 src1_sel:DWORD
	v_mul_f16_sdwa v69, v9, v61 dst_sel:DWORD dst_unused:UNUSED_PAD src0_sel:WORD_1 src1_sel:DWORD
	;; [unrolled: 1-line block ×4, first 2 shown]
	s_waitcnt lgkmcnt(0)
	v_lshrrev_b32_e32 v68, 16, v31
	v_fma_f16 v62, v8, v62, -v65
	v_lshrrev_b32_e32 v55, 16, v32
	v_fmac_f16_e32 v66, v8, v60
	v_mul_f16_sdwa v60, v10, v64 dst_sel:DWORD dst_unused:UNUSED_PAD src0_sel:WORD_1 src1_sel:DWORD
	v_fmac_f16_e32 v67, v9, v61
	v_fma_f16 v9, v9, v63, -v69
	v_mul_f16_sdwa v8, v10, v59 dst_sel:DWORD dst_unused:UNUSED_PAD src0_sel:WORD_1 src1_sel:DWORD
	v_lshrrev_b32_e32 v63, 16, v57
	v_fmac_f16_e32 v60, v10, v59
	v_mul_f16_sdwa v59, v11, v31 dst_sel:DWORD dst_unused:UNUSED_PAD src0_sel:WORD_1 src1_sel:DWORD
	v_mul_f16_sdwa v61, v11, v68 dst_sel:DWORD dst_unused:UNUSED_PAD src0_sel:WORD_1 src1_sel:DWORD
	v_fma_f16 v64, v10, v64, -v8
	v_mul_f16_sdwa v65, v0, v63 dst_sel:DWORD dst_unused:UNUSED_PAD src0_sel:WORD_1 src1_sel:DWORD
	v_mul_f16_sdwa v8, v0, v57 dst_sel:DWORD dst_unused:UNUSED_PAD src0_sel:WORD_1 src1_sel:DWORD
	v_fma_f16 v59, v11, v68, -v59
	v_mul_f16_sdwa v68, v1, v58 dst_sel:DWORD dst_unused:UNUSED_PAD src0_sel:WORD_1 src1_sel:DWORD
	v_mul_f16_sdwa v10, v1, v30 dst_sel:DWORD dst_unused:UNUSED_PAD src0_sel:WORD_1 src1_sel:DWORD
	v_fmac_f16_e32 v61, v11, v31
	v_fmac_f16_e32 v65, v0, v57
	v_fma_f16 v57, v0, v63, -v8
	v_lshrrev_b32_e32 v0, 16, v58
	v_fmac_f16_e32 v68, v1, v30
	v_fma_f16 v63, v1, v58, -v10
	v_add_f16_e32 v1, v67, v60
	v_mul_f16_sdwa v69, v3, v53 dst_sel:DWORD dst_unused:UNUSED_PAD src0_sel:WORD_1 src1_sel:DWORD
	v_mul_f16_sdwa v58, v2, v56 dst_sel:DWORD dst_unused:UNUSED_PAD src0_sel:WORD_1 src1_sel:DWORD
	;; [unrolled: 1-line block ×3, first 2 shown]
	v_add_f16_e32 v11, v32, v66
	v_fma_f16 v8, -0.5, v1, v32
	v_sub_f16_e32 v30, v62, v59
	v_fmac_f16_e32 v69, v3, v52
	v_add_f16_e32 v31, v66, v61
	v_mul_f16_sdwa v52, v3, v52 dst_sel:DWORD dst_unused:UNUSED_PAD src0_sel:WORD_1 src1_sel:DWORD
	v_fmac_f16_e32 v58, v2, v0
	v_fma_f16 v70, v2, v56, -v10
	v_add_f16_e32 v0, v11, v67
	v_fmamk_f16 v1, v30, 0xbb9c, v8
	v_sub_f16_e32 v2, v9, v64
	v_sub_f16_e32 v10, v66, v67
	;; [unrolled: 1-line block ×3, first 2 shown]
	v_fmac_f16_e32 v32, -0.5, v31
	v_fma_f16 v71, v3, v53, -v52
	v_fmac_f16_e32 v8, 0x3b9c, v30
	v_add_f16_e32 v52, v55, v62
	v_fmac_f16_e32 v1, 0xb8b4, v2
	v_add_f16_e32 v10, v10, v11
	v_fmamk_f16 v31, v2, 0x3b9c, v32
	v_sub_f16_e32 v3, v67, v66
	v_sub_f16_e32 v11, v60, v61
	v_fmac_f16_e32 v8, 0x38b4, v2
	v_add_f16_e32 v53, v9, v64
	v_fmac_f16_e32 v32, 0xbb9c, v2
	v_add_f16_e32 v2, v52, v9
	v_fmac_f16_e32 v1, 0x34f2, v10
	v_fmac_f16_e32 v31, 0xb8b4, v30
	v_add_f16_e32 v3, v3, v11
	v_fma_f16 v11, -0.5, v53, v55
	v_sub_f16_e32 v56, v66, v61
	v_fmac_f16_e32 v8, 0x34f2, v10
	v_fmac_f16_e32 v32, 0x38b4, v30
	v_add_f16_e32 v2, v2, v64
	v_add_f16_e32 v10, v62, v59
	;; [unrolled: 1-line block ×3, first 2 shown]
	v_fmac_f16_e32 v31, 0x34f2, v3
	v_fmamk_f16 v52, v56, 0x3b9c, v11
	v_sub_f16_e32 v30, v67, v60
	v_sub_f16_e32 v53, v62, v9
	;; [unrolled: 1-line block ×3, first 2 shown]
	v_fmac_f16_e32 v32, 0x34f2, v3
	v_fmac_f16_e32 v55, -0.5, v10
	v_add_f16_e32 v10, v2, v59
	v_fmac_f16_e32 v11, 0xbb9c, v56
	v_sub_f16_e32 v3, v9, v62
	v_sub_f16_e32 v9, v64, v59
	v_add_f16_e32 v59, v68, v58
	v_fmac_f16_e32 v52, 0x38b4, v30
	v_add_f16_e32 v2, v53, v60
	v_fmamk_f16 v53, v30, 0xbb9c, v55
	v_fmac_f16_e32 v11, 0xb8b4, v30
	v_fmac_f16_e32 v55, 0x3b9c, v30
	v_fma_f16 v30, -0.5, v59, v29
	v_sub_f16_e32 v60, v57, v71
	v_add_f16_e32 v0, v0, v61
	v_fmac_f16_e32 v52, 0x34f2, v2
	v_fmac_f16_e32 v53, 0x38b4, v56
	;; [unrolled: 1-line block ×4, first 2 shown]
	v_fmamk_f16 v2, v60, 0xbb9c, v30
	v_sub_f16_e32 v56, v63, v70
	v_sub_f16_e32 v59, v65, v68
	;; [unrolled: 1-line block ×3, first 2 shown]
	v_fmac_f16_e32 v30, 0x3b9c, v60
	v_add_f16_e32 v62, v65, v69
	v_add_f16_e32 v3, v3, v9
	v_add_f16_e32 v9, v65, v29
	v_fmac_f16_e32 v2, 0xb8b4, v56
	v_add_f16_e32 v59, v59, v61
	v_fmac_f16_e32 v30, 0x38b4, v56
	v_fmac_f16_e32 v29, -0.5, v62
	v_sub_f16_e32 v61, v68, v65
	v_sub_f16_e32 v62, v58, v69
	v_fmac_f16_e32 v53, 0x34f2, v3
	v_fmac_f16_e32 v55, 0x34f2, v3
	;; [unrolled: 1-line block ×4, first 2 shown]
	v_fmamk_f16 v3, v56, 0x3b9c, v29
	v_add_f16_e32 v59, v63, v70
	v_fmac_f16_e32 v29, 0xbb9c, v56
	v_add_f16_e32 v61, v61, v62
	v_add_f16_e32 v62, v57, v71
	;; [unrolled: 1-line block ×4, first 2 shown]
	v_fma_f16 v59, -0.5, v59, v54
	v_sub_f16_e32 v64, v65, v69
	v_fmac_f16_e32 v3, 0xb8b4, v60
	v_fmac_f16_e32 v29, 0x38b4, v60
	v_sub_f16_e32 v65, v68, v58
	v_fmac_f16_e32 v54, -0.5, v62
	v_add_f16_e32 v9, v58, v9
	v_add_f16_e32 v60, v63, v56
	v_fmamk_f16 v56, v64, 0x3b9c, v59
	v_fmac_f16_e32 v3, 0x34f2, v61
	v_fmac_f16_e32 v29, 0x34f2, v61
	v_sub_f16_e32 v61, v57, v63
	v_sub_f16_e32 v62, v71, v70
	v_fmac_f16_e32 v59, 0xbb9c, v64
	v_fmamk_f16 v58, v65, 0xbb9c, v54
	v_sub_f16_e32 v57, v63, v57
	v_sub_f16_e32 v63, v70, v71
	v_fmac_f16_e32 v54, 0x3b9c, v65
	v_add_f16_e32 v60, v70, v60
	v_fmac_f16_e32 v56, 0x38b4, v65
	v_add_f16_e32 v61, v61, v62
	v_fmac_f16_e32 v59, 0xb8b4, v65
	v_fmac_f16_e32 v58, 0x38b4, v64
	v_add_f16_e32 v62, v57, v63
	v_fmac_f16_e32 v54, 0xb8b4, v64
	v_add_f16_e32 v9, v69, v9
	v_add_f16_e32 v57, v71, v60
	v_fmac_f16_e32 v56, 0x34f2, v61
	v_fmac_f16_e32 v59, 0x34f2, v61
	;; [unrolled: 1-line block ×4, first 2 shown]
	v_pack_b32_f16 v60, v0, v10
	v_pack_b32_f16 v61, v1, v52
	;; [unrolled: 1-line block ×5, first 2 shown]
	s_barrier
	buffer_gl0_inv
	ds_write2_b32 v48, v60, v61 offset1:3
	ds_write2_b32 v48, v62, v63 offset0:6 offset1:9
	ds_write_b32 v48, v64 offset:48
	s_and_saveexec_b32 s1, vcc_lo
	s_cbranch_execz .LBB0_13
; %bb.12:
	v_mad_u16 v46, v46, 15, v47
	v_mov_b32_e32 v47, 2
	v_perm_b32 v48, v57, v9, 0x5040100
	v_perm_b32 v60, v56, v2, 0x5040100
	;; [unrolled: 1-line block ×4, first 2 shown]
	v_lshlrev_b32_sdwa v46, v47, v46 dst_sel:DWORD dst_unused:UNUSED_PAD src0_sel:DWORD src1_sel:WORD_0
	v_perm_b32 v47, v54, v29, 0x5040100
	ds_write2_b32 v46, v48, v60 offset1:3
	ds_write2_b32 v46, v61, v47 offset0:6 offset1:9
	ds_write_b32 v46, v62 offset:48
.LBB0_13:
	s_or_b32 exec_lo, exec_lo, s1
	s_waitcnt lgkmcnt(0)
	s_barrier
	buffer_gl0_inv
	s_and_saveexec_b32 s1, s0
	s_cbranch_execz .LBB0_15
; %bb.14:
	v_add_nc_u32_e32 v2, 0x400, v33
	v_add_nc_u32_e32 v3, 0x800, v33
	;; [unrolled: 1-line block ×4, first 2 shown]
	ds_read2_b32 v[0:1], v33 offset1:135
	ds_read2_b32 v[31:32], v2 offset0:14 offset1:149
	ds_read2_b32 v[8:9], v3 offset0:28 offset1:163
	;; [unrolled: 1-line block ×4, first 2 shown]
	ds_read_b32 v50, v33 offset:5400
	s_waitcnt lgkmcnt(3)
	v_lshrrev_b32_e32 v11, 16, v8
	v_lshrrev_b32_e32 v10, 16, v0
	;; [unrolled: 1-line block ×6, first 2 shown]
	s_waitcnt lgkmcnt(2)
	v_lshrrev_b32_e32 v56, 16, v2
	v_lshrrev_b32_e32 v58, 16, v3
	s_waitcnt lgkmcnt(1)
	v_lshrrev_b32_e32 v54, 16, v29
	v_lshrrev_b32_e32 v59, 16, v30
	s_waitcnt lgkmcnt(0)
	v_lshrrev_b32_e32 v51, 16, v50
.LBB0_15:
	s_or_b32 exec_lo, exec_lo, s1
	s_barrier
	buffer_gl0_inv
	s_and_saveexec_b32 s1, s0
	s_cbranch_execz .LBB0_17
; %bb.16:
	v_mul_f16_sdwa v46, v18, v50 dst_sel:DWORD dst_unused:UNUSED_PAD src0_sel:WORD_1 src1_sel:DWORD
	v_mul_f16_sdwa v47, v12, v1 dst_sel:DWORD dst_unused:UNUSED_PAD src0_sel:WORD_1 src1_sel:DWORD
	;; [unrolled: 1-line block ×5, first 2 shown]
	v_fma_f16 v46, v18, v51, -v46
	v_fma_f16 v47, v12, v52, -v47
	v_mul_f16_sdwa v51, v17, v30 dst_sel:DWORD dst_unused:UNUSED_PAD src0_sel:WORD_1 src1_sel:DWORD
	v_mul_f16_sdwa v52, v13, v31 dst_sel:DWORD dst_unused:UNUSED_PAD src0_sel:WORD_1 src1_sel:DWORD
	v_fmac_f16_e32 v60, v18, v50
	v_fmac_f16_e32 v48, v12, v1
	v_add_f16_e32 v12, v46, v47
	v_fma_f16 v18, v17, v59, -v51
	v_fma_f16 v50, v13, v53, -v52
	v_mul_f16_sdwa v51, v13, v53 dst_sel:DWORD dst_unused:UNUSED_PAD src0_sel:WORD_1 src1_sel:DWORD
	v_mul_f16_sdwa v52, v17, v59 dst_sel:DWORD dst_unused:UNUSED_PAD src0_sel:WORD_1 src1_sel:DWORD
	v_mul_f16_e32 v53, 0xbbad, v12
	v_sub_f16_e32 v59, v48, v60
	v_add_f16_e32 v61, v18, v50
	v_fmac_f16_e32 v51, v13, v31
	v_fmac_f16_e32 v52, v17, v30
	v_mul_f16_sdwa v30, v7, v29 dst_sel:DWORD dst_unused:UNUSED_PAD src0_sel:WORD_1 src1_sel:DWORD
	v_mul_f16_sdwa v31, v14, v32 dst_sel:DWORD dst_unused:UNUSED_PAD src0_sel:WORD_1 src1_sel:DWORD
	;; [unrolled: 1-line block ×3, first 2 shown]
	v_fmamk_f16 v13, v59, 0x3482, v53
	v_mul_f16_e32 v17, 0x3abb, v61
	v_fma_f16 v30, v7, v54, -v30
	v_fma_f16 v31, v14, v55, -v31
	v_mul_f16_sdwa v55, v14, v55 dst_sel:DWORD dst_unused:UNUSED_PAD src0_sel:WORD_1 src1_sel:DWORD
	v_mul_f16_sdwa v54, v7, v54 dst_sel:DWORD dst_unused:UNUSED_PAD src0_sel:WORD_1 src1_sel:DWORD
	v_sub_f16_e32 v1, v51, v52
	v_add_f16_e32 v13, v10, v13
	v_add_f16_e32 v65, v30, v31
	v_fmac_f16_e32 v55, v14, v32
	v_fmac_f16_e32 v54, v7, v29
	v_fma_f16 v7, v6, v58, -v63
	v_fma_f16 v14, v15, v11, -v64
	v_mul_f16_sdwa v11, v15, v11 dst_sel:DWORD dst_unused:UNUSED_PAD src0_sel:WORD_1 src1_sel:DWORD
	v_mul_f16_sdwa v29, v6, v58 dst_sel:DWORD dst_unused:UNUSED_PAD src0_sel:WORD_1 src1_sel:DWORD
	v_fmamk_f16 v62, v1, 0xb853, v17
	v_mul_f16_e32 v32, 0xb93d, v65
	v_sub_f16_e32 v58, v55, v54
	v_add_f16_e32 v63, v7, v14
	v_fmac_f16_e32 v11, v15, v8
	v_fmac_f16_e32 v29, v6, v3
	v_add_f16_e32 v3, v62, v13
	v_fmamk_f16 v6, v58, 0x3a0c, v32
	v_mul_f16_e32 v8, 0x36a6, v63
	v_mul_f16_sdwa v15, v5, v2 dst_sel:DWORD dst_unused:UNUSED_PAD src0_sel:WORD_1 src1_sel:DWORD
	v_sub_f16_e32 v13, v11, v29
	v_mul_f16_sdwa v62, v4, v9 dst_sel:DWORD dst_unused:UNUSED_PAD src0_sel:WORD_1 src1_sel:DWORD
	v_add_f16_e32 v3, v6, v3
	v_add_f16_e32 v64, v60, v48
	v_sub_f16_e32 v68, v50, v18
	v_fmamk_f16 v6, v13, 0xbb47, v8
	v_fma_f16 v62, v4, v57, -v62
	v_mul_f16_sdwa v57, v4, v57 dst_sel:DWORD dst_unused:UNUSED_PAD src0_sel:WORD_1 src1_sel:DWORD
	v_sub_f16_e32 v69, v31, v30
	v_add_f16_e32 v72, v54, v55
	v_add_f16_e32 v3, v6, v3
	v_fma_f16 v6, v5, v56, -v15
	v_sub_f16_e32 v15, v47, v46
	v_mul_f16_sdwa v56, v5, v56 dst_sel:DWORD dst_unused:UNUSED_PAD src0_sel:WORD_1 src1_sel:DWORD
	v_fmac_f16_e32 v57, v4, v9
	v_add_f16_e32 v4, v52, v51
	v_mul_f16_e32 v73, 0xba0c, v69
	v_mul_f16_e32 v66, 0xb482, v15
	v_fmac_f16_e32 v56, v5, v2
	v_mul_f16_e32 v5, 0x3853, v68
	v_add_f16_e32 v76, v29, v11
	v_fmamk_f16 v75, v72, 0xb93d, v73
	v_fmamk_f16 v2, v64, 0xbbad, v66
	v_add_f16_e32 v81, v56, v57
	v_fmamk_f16 v71, v4, 0x3abb, v5
	v_mul_f16_e32 v85, 0xba0c, v15
	v_mul_f16_e32 v87, 0x3beb, v68
	v_add_f16_e32 v2, v0, v2
	v_mul_f16_e32 v90, 0xb853, v69
	v_mul_f16_e32 v97, 0xbbeb, v15
	v_mul_f16_e32 v99, 0x3482, v68
	v_fmamk_f16 v89, v4, 0xb08e, v87
	v_add_f16_e32 v2, v71, v2
	v_sub_f16_e32 v71, v14, v7
	v_mul_f16_e32 v102, 0x3b47, v69
	v_fmamk_f16 v101, v4, 0xbbad, v99
	v_add_f16_e32 v67, v6, v62
	v_add_f16_e32 v2, v75, v2
	v_mul_f16_e32 v77, 0x3b47, v71
	v_sub_f16_e32 v75, v62, v6
	v_mul_f16_e32 v92, 0xb482, v71
	v_mul_f16_e32 v104, 0xb853, v71
	;; [unrolled: 1-line block ×3, first 2 shown]
	v_fmamk_f16 v80, v76, 0x36a6, v77
	v_mul_f16_e32 v82, 0xbbeb, v75
	v_mul_f16_e32 v94, 0x3b47, v75
	v_sub_f16_e32 v70, v57, v56
	v_mul_f16_e32 v106, 0xba0c, v75
	v_add_f16_e32 v2, v80, v2
	v_fmamk_f16 v80, v81, 0xb08e, v82
	v_mul_f16_e32 v112, 0xba0c, v68
	v_fmamk_f16 v74, v70, 0x3beb, v9
	v_fmamk_f16 v109, v81, 0xb93d, v106
	v_mul_f16_e32 v91, 0xb08e, v12
	v_add_f16_e32 v2, v80, v2
	v_fmamk_f16 v80, v64, 0xb93d, v85
	v_add_f16_e32 v3, v74, v3
	v_mul_f16_e32 v74, 0xb93d, v12
	v_mul_f16_e32 v103, 0x36a6, v12
	v_mul_f16_e32 v113, 0x3482, v69
	v_add_f16_e32 v80, v0, v80
	v_mul_f16_e32 v12, 0x3abb, v12
	v_mul_f16_e32 v79, 0xb08e, v61
	;; [unrolled: 1-line block ×4, first 2 shown]
	v_add_f16_e32 v80, v89, v80
	v_fmamk_f16 v89, v72, 0x3abb, v90
	v_fmamk_f16 v114, v59, 0x3853, v12
	v_mul_f16_e32 v61, 0x36a6, v61
	v_mul_f16_e32 v84, 0x3abb, v65
	;; [unrolled: 1-line block ×3, first 2 shown]
	v_add_f16_e32 v80, v89, v80
	v_fmamk_f16 v89, v76, 0xbbad, v92
	v_mul_f16_e32 v108, 0xbbad, v65
	v_mul_f16_e32 v65, 0xb08e, v65
	v_add_f16_e32 v48, v0, v48
	v_mul_f16_e32 v86, 0xbbad, v63
	v_add_f16_e32 v80, v89, v80
	v_fmamk_f16 v89, v81, 0x36a6, v94
	v_mul_f16_e32 v98, 0x3abb, v63
	v_mul_f16_e32 v110, 0xb08e, v63
	;; [unrolled: 1-line block ×3, first 2 shown]
	v_add_f16_e32 v47, v47, v10
	v_add_f16_e32 v80, v89, v80
	v_fmamk_f16 v89, v64, 0xb08e, v97
	v_add_f16_e32 v48, v51, v48
	v_fmamk_f16 v51, v13, 0x3a0c, v63
	;; [unrolled: 2-line block ×3, first 2 shown]
	v_add_f16_e32 v89, v0, v89
	v_add_f16_e32 v48, v55, v48
	v_mul_f16_e32 v55, 0xbb47, v68
	v_add_f16_e32 v31, v31, v47
	v_add_f16_e32 v78, v10, v78
	;; [unrolled: 1-line block ×3, first 2 shown]
	v_fmamk_f16 v101, v72, 0x36a6, v102
	v_add_f16_e32 v11, v11, v48
	v_add_f16_e32 v14, v14, v31
	v_mul_f16_e32 v31, 0xbbeb, v69
	v_fmamk_f16 v83, v1, 0xbbeb, v79
	v_add_f16_e32 v89, v101, v89
	v_fmamk_f16 v101, v76, 0x3abb, v104
	v_add_f16_e32 v11, v57, v11
	v_add_f16_e32 v14, v62, v14
	v_fmac_f16_e32 v53, 0xb482, v59
	v_add_f16_e32 v78, v83, v78
	v_add_f16_e32 v89, v101, v89
	v_mul_f16_e32 v101, 0xbb47, v15
	v_mul_f16_e32 v15, 0xb853, v15
	v_add_f16_e32 v11, v56, v11
	v_mul_f16_e32 v56, 0xba0c, v71
	v_add_f16_e32 v89, v109, v89
	v_fmamk_f16 v111, v64, 0x36a6, v101
	v_add_f16_e32 v6, v6, v14
	v_add_f16_e32 v11, v29, v11
	v_fmamk_f16 v29, v76, 0xb93d, v56
	v_fmamk_f16 v83, v58, 0x3853, v84
	v_add_f16_e32 v109, v0, v111
	v_fmamk_f16 v111, v4, 0xb93d, v112
	v_add_f16_e32 v6, v7, v6
	v_add_f16_e32 v7, v54, v11
	v_fmac_f16_e32 v17, 0x3853, v1
	v_add_f16_e32 v78, v83, v78
	v_add_f16_e32 v109, v111, v109
	v_fmamk_f16 v111, v72, 0xbbad, v113
	v_fmamk_f16 v83, v13, 0x3482, v86
	v_mul_f16_e32 v88, 0x36a6, v67
	v_fmac_f16_e32 v32, 0xba0c, v58
	v_fma_f16 v5, v4, 0x3abb, -v5
	v_add_f16_e32 v109, v111, v109
	v_add_f16_e32 v111, v10, v114
	v_fmamk_f16 v114, v1, 0x3b47, v61
	v_add_f16_e32 v78, v83, v78
	v_fmamk_f16 v83, v70, 0xbb47, v88
	v_fmac_f16_e32 v8, 0x3b47, v13
	v_add_f16_e32 v6, v30, v6
	v_add_f16_e32 v111, v114, v111
	v_fmamk_f16 v114, v58, 0x3beb, v65
	v_add_f16_e32 v78, v83, v78
	v_fmamk_f16 v83, v59, 0x3beb, v91
	v_fmac_f16_e32 v74, 0xba0c, v59
	v_fmac_f16_e32 v9, 0xbbeb, v70
	v_add_f16_e32 v111, v114, v111
	v_fmamk_f16 v95, v1, 0xb482, v93
	v_add_f16_e32 v83, v10, v83
	v_add_f16_e32 v6, v18, v6
	;; [unrolled: 1-line block ×4, first 2 shown]
	v_fmamk_f16 v51, v64, 0x3abb, v15
	v_fmac_f16_e32 v79, 0x3beb, v1
	v_add_f16_e32 v83, v95, v83
	v_fmamk_f16 v95, v58, 0xbb47, v96
	v_mul_f16_e32 v100, 0xb93d, v67
	v_add_f16_e32 v48, v0, v51
	v_fmamk_f16 v51, v4, 0x36a6, v55
	v_fma_f16 v30, v4, 0xbbad, -v99
	v_add_f16_e32 v83, v95, v83
	v_fmamk_f16 v95, v13, 0x3853, v98
	v_fmamk_f16 v107, v1, 0x3a0c, v105
	v_add_f16_e32 v48, v51, v48
	v_fmamk_f16 v51, v72, 0xb08e, v31
	v_add_f16_e32 v6, v46, v6
	v_add_f16_e32 v83, v95, v83
	v_fmamk_f16 v95, v70, 0x3a0c, v100
	v_fma_f16 v46, v4, 0xb93d, -v112
	v_add_f16_e32 v14, v51, v48
	v_mul_f16_e32 v48, 0xb482, v75
	v_fmac_f16_e32 v91, 0xbbeb, v59
	v_add_f16_e32 v83, v95, v83
	v_fmamk_f16 v95, v59, 0x3b47, v103
	v_add_f16_e32 v11, v29, v14
	v_fmamk_f16 v14, v81, 0xbbad, v48
	v_add_f16_e32 v29, v10, v53
	v_fmac_f16_e32 v103, 0xbb47, v59
	v_add_f16_e32 v95, v10, v95
	v_fmac_f16_e32 v12, 0xb853, v59
	v_add_f16_e32 v11, v14, v11
	v_fma_f16 v14, v64, 0xbbad, -v66
	v_add_f16_e32 v17, v17, v29
	v_add_f16_e32 v95, v107, v95
	v_fmamk_f16 v107, v58, 0xb482, v108
	v_fma_f16 v15, v64, 0x3abb, -v15
	v_add_f16_e32 v14, v0, v14
	v_add_f16_e32 v17, v32, v17
	v_fma_f16 v32, v81, 0xb93d, -v106
	v_add_f16_e32 v95, v107, v95
	v_fmamk_f16 v107, v13, 0xbbeb, v110
	v_add_f16_e32 v5, v5, v14
	v_fma_f16 v14, v72, 0xb93d, -v73
	v_add_f16_e32 v8, v8, v17
	v_add_f16_e32 v17, v79, v18
	v_fma_f16 v18, v4, 0xb08e, -v87
	v_add_f16_e32 v95, v107, v95
	;; [unrolled: 3-line block ×3, first 2 shown]
	v_fma_f16 v9, v64, 0xb93d, -v85
	v_mul_f16_e32 v107, 0x3abb, v67
	v_mul_f16_e32 v116, 0x3beb, v71
	v_add_f16_e32 v5, v14, v5
	v_fma_f16 v14, v81, 0xb08e, -v82
	v_add_f16_e32 v9, v0, v9
	v_add_f16_e32 v29, v10, v91
	v_fmac_f16_e32 v93, 0x3482, v1
	v_fmac_f16_e32 v105, 0xba0c, v1
	v_add_f16_e32 v5, v14, v5
	v_add_f16_e32 v9, v18, v9
	v_fma_f16 v14, v72, 0x3abb, -v90
	v_fma_f16 v18, v64, 0xb08e, -v97
	v_fmac_f16_e32 v61, 0xbb47, v1
	v_fma_f16 v4, v4, 0x36a6, -v55
	v_fmamk_f16 v115, v70, 0xb853, v107
	v_add_f16_e32 v9, v14, v9
	v_fma_f16 v14, v76, 0xbbad, -v92
	v_add_f16_e32 v18, v0, v18
	v_mul_f16_e32 v47, 0xbbad, v67
	v_fmac_f16_e32 v84, 0xb853, v58
	v_add_f16_e32 v29, v93, v29
	v_add_f16_e32 v9, v14, v9
	v_fma_f16 v14, v81, 0x36a6, -v94
	v_add_f16_e32 v18, v30, v18
	v_fma_f16 v30, v72, 0x36a6, -v102
	v_fmac_f16_e32 v96, 0x3b47, v58
	v_fmac_f16_e32 v108, 0x3482, v58
	v_add_f16_e32 v9, v14, v9
	v_fmac_f16_e32 v65, 0xbbeb, v58
	v_add_f16_e32 v14, v30, v18
	v_fma_f16 v18, v76, 0x3abb, -v104
	v_add_f16_e32 v30, v10, v103
	v_add_f16_e32 v10, v10, v12
	v_fma_f16 v12, v76, 0xb08e, -v116
	v_fmamk_f16 v117, v76, 0xb08e, v116
	v_add_f16_e32 v14, v18, v14
	v_fma_f16 v18, v64, 0x36a6, -v101
	v_add_f16_e32 v30, v105, v30
	v_add_f16_e32 v10, v61, v10
	v_add_f16_e32 v95, v115, v95
	v_add_f16_e32 v14, v32, v14
	v_add_f16_e32 v18, v0, v18
	v_fma_f16 v32, v72, 0xbbad, -v113
	v_add_f16_e32 v0, v0, v15
	v_mul_f16_e32 v115, 0x3853, v75
	v_fmamk_f16 v57, v70, 0x3482, v47
	v_add_f16_e32 v18, v46, v18
	v_add_f16_e32 v7, v52, v7
	;; [unrolled: 1-line block ×3, first 2 shown]
	v_fma_f16 v4, v72, 0xb08e, -v31
	v_add_f16_e32 v17, v84, v17
	v_add_f16_e32 v1, v32, v18
	v_fmac_f16_e32 v86, 0xb482, v13
	v_add_f16_e32 v29, v96, v29
	v_fmac_f16_e32 v98, 0xb853, v13
	v_add_f16_e32 v30, v108, v30
	v_add_f16_e32 v1, v12, v1
	v_mov_b32_e32 v12, 0xa5
	v_fmac_f16_e32 v110, 0x3beb, v13
	v_add_f16_e32 v10, v65, v10
	v_fmac_f16_e32 v63, 0xba0c, v13
	v_add_f16_e32 v0, v4, v0
	v_fma_f16 v4, v76, 0xb93d, -v56
	v_add_f16_e32 v109, v117, v109
	v_fmamk_f16 v117, v81, 0x3abb, v115
	v_add_f16_e32 v50, v57, v50
	v_add_f16_e32 v7, v60, v7
	v_mul_u32_u24_sdwa v12, v45, v12 dst_sel:DWORD dst_unused:UNUSED_PAD src0_sel:WORD_0 src1_sel:DWORD
	v_add_f16_e32 v17, v86, v17
	v_fmac_f16_e32 v88, 0x3b47, v70
	v_add_f16_e32 v29, v98, v29
	v_fmac_f16_e32 v100, 0xba0c, v70
	;; [unrolled: 2-line block ×3, first 2 shown]
	v_fma_f16 v13, v81, 0x3abb, -v115
	v_add_f16_e32 v10, v63, v10
	v_fmac_f16_e32 v47, 0xb482, v70
	v_add_f16_e32 v0, v4, v0
	v_fma_f16 v4, v81, 0xbbad, -v48
	v_add_f16_e32 v109, v117, v109
	v_add_lshl_u32 v12, v12, v44, 2
	v_pack_b32_f16 v6, v7, v6
	v_pack_b32_f16 v7, v11, v50
	v_add_f16_e32 v17, v88, v17
	v_add_f16_e32 v29, v100, v29
	;; [unrolled: 1-line block ×6, first 2 shown]
	ds_write2_b32 v12, v6, v7 offset1:15
	v_pack_b32_f16 v4, v109, v95
	v_pack_b32_f16 v6, v89, v83
	;; [unrolled: 1-line block ×9, first 2 shown]
	ds_write2_b32 v12, v4, v6 offset0:30 offset1:45
	ds_write2_b32 v12, v7, v2 offset0:60 offset1:75
	;; [unrolled: 1-line block ×4, first 2 shown]
	ds_write_b32 v12, v0 offset:600
.LBB0_17:
	s_or_b32 exec_lo, exec_lo, s1
	v_add_nc_u32_e32 v3, 0x400, v33
	v_add_nc_u32_e32 v2, 0xf00, v33
	;; [unrolled: 1-line block ×3, first 2 shown]
	s_waitcnt lgkmcnt(0)
	s_barrier
	buffer_gl0_inv
	ds_read2_b32 v[0:1], v33 offset1:165
	ds_read_b32 v11, v33 offset:5280
	ds_read2_b32 v[5:6], v3 offset0:74 offset1:239
	ds_read2_b32 v[7:8], v2 offset0:30 offset1:195
	;; [unrolled: 1-line block ×3, first 2 shown]
	s_waitcnt lgkmcnt(0)
	s_barrier
	buffer_gl0_inv
	s_mov_b32 s4, 0xef473283
	s_mov_b32 s5, 0x3f4610e4
	s_mul_i32 s6, s8, 0x7bc
	v_lshrrev_b32_e32 v14, 16, v11
	v_lshrrev_b32_e32 v15, 16, v6
	v_lshrrev_b32_e32 v17, 16, v7
	v_lshrrev_b32_e32 v18, 16, v9
	v_mul_f16_sdwa v32, v21, v6 dst_sel:DWORD dst_unused:UNUSED_PAD src0_sel:WORD_1 src1_sel:DWORD
	v_mul_f16_sdwa v44, v22, v7 dst_sel:DWORD dst_unused:UNUSED_PAD src0_sel:WORD_1 src1_sel:DWORD
	v_lshrrev_b32_e32 v29, 16, v8
	v_lshrrev_b32_e32 v31, 16, v10
	v_mul_f16_sdwa v45, v21, v9 dst_sel:DWORD dst_unused:UNUSED_PAD src0_sel:WORD_1 src1_sel:DWORD
	v_mul_f16_sdwa v47, v21, v15 dst_sel:DWORD dst_unused:UNUSED_PAD src0_sel:WORD_1 src1_sel:DWORD
	v_fma_f16 v15, v21, v15, -v32
	v_mul_f16_sdwa v32, v22, v17 dst_sel:DWORD dst_unused:UNUSED_PAD src0_sel:WORD_1 src1_sel:DWORD
	v_fma_f16 v17, v22, v17, -v44
	;; [unrolled: 2-line block ×3, first 2 shown]
	v_mul_f16_sdwa v45, v22, v29 dst_sel:DWORD dst_unused:UNUSED_PAD src0_sel:WORD_1 src1_sel:DWORD
	v_mul_f16_sdwa v48, v19, v31 dst_sel:DWORD dst_unused:UNUSED_PAD src0_sel:WORD_1 src1_sel:DWORD
	v_fmac_f16_e32 v47, v21, v6
	v_fmac_f16_e32 v32, v22, v7
	;; [unrolled: 1-line block ×3, first 2 shown]
	v_mul_f16_sdwa v9, v20, v11 dst_sel:DWORD dst_unused:UNUSED_PAD src0_sel:WORD_1 src1_sel:DWORD
	v_lshrrev_b32_e32 v12, 16, v0
	v_mul_f16_sdwa v46, v22, v8 dst_sel:DWORD dst_unused:UNUSED_PAD src0_sel:WORD_1 src1_sel:DWORD
	v_fmac_f16_e32 v45, v22, v8
	v_mul_f16_sdwa v6, v19, v10 dst_sel:DWORD dst_unused:UNUSED_PAD src0_sel:WORD_1 src1_sel:DWORD
	v_mul_f16_sdwa v8, v20, v14 dst_sel:DWORD dst_unused:UNUSED_PAD src0_sel:WORD_1 src1_sel:DWORD
	v_fmac_f16_e32 v48, v19, v10
	v_add_f16_e32 v10, v47, v32
	v_fma_f16 v9, v20, v14, -v9
	v_add_f16_e32 v14, v15, v17
	v_fma_f16 v7, v22, v29, -v46
	v_fmac_f16_e32 v8, v20, v11
	v_add_f16_e32 v11, v0, v47
	v_fma_f16 v0, -0.5, v10, v0
	v_sub_f16_e32 v10, v15, v17
	v_add_f16_e32 v15, v12, v15
	v_fmac_f16_e32 v12, -0.5, v14
	v_sub_f16_e32 v14, v47, v32
	v_lshrrev_b32_e32 v13, 16, v1
	v_fma_f16 v6, v19, v31, -v6
	v_fmamk_f16 v19, v10, 0xbaee, v0
	v_fmac_f16_e32 v0, 0x3aee, v10
	v_add_f16_e32 v10, v15, v17
	v_add_f16_e32 v15, v44, v45
	v_fmamk_f16 v17, v14, 0x3aee, v12
	v_fmac_f16_e32 v12, 0xbaee, v14
	v_add_f16_e32 v14, v18, v7
	v_add_f16_e32 v20, v1, v44
	v_fmac_f16_e32 v1, -0.5, v15
	v_sub_f16_e32 v15, v18, v7
	v_add_f16_e32 v18, v13, v18
	v_fmac_f16_e32 v13, -0.5, v14
	v_sub_f16_e32 v14, v44, v45
	v_lshrrev_b32_e32 v30, 16, v5
	v_fmamk_f16 v21, v15, 0xbaee, v1
	v_fmac_f16_e32 v1, 0x3aee, v15
	v_add_f16_e32 v7, v18, v7
	v_add_f16_e32 v15, v48, v8
	v_fmamk_f16 v18, v14, 0x3aee, v13
	v_fmac_f16_e32 v13, 0xbaee, v14
	v_add_f16_e32 v14, v6, v9
	v_add_f16_e32 v22, v5, v48
	v_fmac_f16_e32 v5, -0.5, v15
	v_sub_f16_e32 v15, v6, v9
	v_add_f16_e32 v6, v30, v6
	v_fmac_f16_e32 v30, -0.5, v14
	v_sub_f16_e32 v14, v48, v8
	v_add_f16_e32 v11, v11, v32
	v_add_f16_e32 v20, v20, v45
	;; [unrolled: 1-line block ×3, first 2 shown]
	v_fmamk_f16 v22, v15, 0xbaee, v5
	v_add_f16_e32 v6, v6, v9
	v_fmamk_f16 v9, v14, 0x3aee, v30
	v_fmac_f16_e32 v5, 0x3aee, v15
	v_fmac_f16_e32 v30, 0xbaee, v14
	v_pack_b32_f16 v10, v11, v10
	v_pack_b32_f16 v11, v19, v17
	;; [unrolled: 1-line block ×8, first 2 shown]
	v_add_nc_u32_e32 v9, 0xf00, v49
	v_pack_b32_f16 v5, v5, v30
	ds_write2_b32 v33, v10, v11 offset1:165
	ds_write2_b32 v3, v0, v7 offset0:74 offset1:239
	ds_write2_b32 v4, v12, v1 offset0:20 offset1:185
	ds_write2_b32 v9, v6, v8 offset0:30 offset1:195
	ds_write_b32 v49, v5 offset:5280
	s_waitcnt lgkmcnt(0)
	s_barrier
	buffer_gl0_inv
	ds_read2_b32 v[0:1], v33 offset1:165
	ds_read2_b32 v[5:6], v3 offset0:74 offset1:239
	ds_read2_b32 v[7:8], v2 offset0:30 offset1:195
	;; [unrolled: 1-line block ×3, first 2 shown]
	ds_read_b32 v11, v33 offset:5280
	s_waitcnt lgkmcnt(4)
	v_lshrrev_b32_e32 v12, 16, v0
	s_waitcnt lgkmcnt(3)
	v_lshrrev_b32_e32 v13, 16, v6
	;; [unrolled: 2-line block ×4, first 2 shown]
	v_lshrrev_b32_e32 v18, 16, v8
	v_mul_f16_sdwa v22, v27, v6 dst_sel:DWORD dst_unused:UNUSED_PAD src0_sel:WORD_1 src1_sel:DWORD
	v_mul_f16_sdwa v20, v27, v13 dst_sel:DWORD dst_unused:UNUSED_PAD src0_sel:WORD_1 src1_sel:DWORD
	;; [unrolled: 1-line block ×3, first 2 shown]
	v_lshrrev_b32_e32 v21, 16, v10
	s_waitcnt lgkmcnt(0)
	v_lshrrev_b32_e32 v29, 16, v11
	v_fma_f16 v13, v27, v13, -v22
	v_fmac_f16_e32 v20, v27, v6
	v_mul_f16_sdwa v6, v28, v7 dst_sel:DWORD dst_unused:UNUSED_PAD src0_sel:WORD_1 src1_sel:DWORD
	v_mul_f16_sdwa v22, v25, v17 dst_sel:DWORD dst_unused:UNUSED_PAD src0_sel:WORD_1 src1_sel:DWORD
	v_fmac_f16_e32 v30, v28, v7
	v_mul_f16_sdwa v7, v25, v9 dst_sel:DWORD dst_unused:UNUSED_PAD src0_sel:WORD_1 src1_sel:DWORD
	v_lshrrev_b32_e32 v15, 16, v1
	v_fma_f16 v6, v28, v14, -v6
	v_mul_f16_sdwa v14, v26, v18 dst_sel:DWORD dst_unused:UNUSED_PAD src0_sel:WORD_1 src1_sel:DWORD
	v_fmac_f16_e32 v22, v25, v9
	v_mul_f16_sdwa v9, v26, v8 dst_sel:DWORD dst_unused:UNUSED_PAD src0_sel:WORD_1 src1_sel:DWORD
	v_fma_f16 v7, v25, v17, -v7
	v_mul_f16_sdwa v17, v23, v21 dst_sel:DWORD dst_unused:UNUSED_PAD src0_sel:WORD_1 src1_sel:DWORD
	v_fmac_f16_e32 v14, v26, v8
	v_mul_f16_sdwa v8, v23, v10 dst_sel:DWORD dst_unused:UNUSED_PAD src0_sel:WORD_1 src1_sel:DWORD
	;; [unrolled: 4-line block ×3, first 2 shown]
	v_fma_f16 v8, v23, v21, -v8
	v_add_f16_e32 v21, v20, v30
	v_add_f16_e32 v23, v13, v6
	v_fmac_f16_e32 v18, v24, v11
	v_add_f16_e32 v11, v0, v20
	v_sub_f16_e32 v20, v20, v30
	v_fma_f16 v0, -0.5, v21, v0
	v_sub_f16_e32 v21, v13, v6
	v_add_f16_e32 v13, v12, v13
	v_fmac_f16_e32 v12, -0.5, v23
	v_fma_f16 v10, v24, v29, -v10
	v_add_f16_e32 v24, v1, v22
	v_fmamk_f16 v23, v21, 0xbaee, v0
	v_add_f16_e32 v6, v13, v6
	v_add_f16_e32 v13, v22, v14
	v_fmac_f16_e32 v0, 0x3aee, v21
	v_fmamk_f16 v21, v20, 0x3aee, v12
	v_fmac_f16_e32 v12, 0xbaee, v20
	v_add_f16_e32 v20, v7, v9
	v_fmac_f16_e32 v1, -0.5, v13
	v_sub_f16_e32 v13, v7, v9
	v_add_f16_e32 v7, v15, v7
	v_add_f16_e32 v24, v24, v14
	v_fmac_f16_e32 v15, -0.5, v20
	v_sub_f16_e32 v14, v22, v14
	v_lshrrev_b32_e32 v19, 16, v5
	v_add_f16_e32 v7, v7, v9
	v_add_f16_e32 v9, v17, v18
	v_fmamk_f16 v20, v13, 0xbaee, v1
	v_fmac_f16_e32 v1, 0x3aee, v13
	v_fmamk_f16 v13, v14, 0x3aee, v15
	v_fmac_f16_e32 v15, 0xbaee, v14
	v_add_f16_e32 v14, v8, v10
	v_add_f16_e32 v22, v5, v17
	v_fmac_f16_e32 v5, -0.5, v9
	v_sub_f16_e32 v9, v8, v10
	v_add_f16_e32 v8, v19, v8
	v_fmac_f16_e32 v19, -0.5, v14
	v_sub_f16_e32 v14, v17, v18
	v_add_f16_e32 v11, v11, v30
	v_add_f16_e32 v22, v22, v18
	;; [unrolled: 1-line block ×3, first 2 shown]
	v_fmamk_f16 v17, v9, 0xbaee, v5
	v_fmac_f16_e32 v5, 0x3aee, v9
	v_pack_b32_f16 v9, v23, v21
	v_fmamk_f16 v10, v14, 0x3aee, v19
	v_fmac_f16_e32 v19, 0xbaee, v14
	v_pack_b32_f16 v0, v0, v12
	v_pack_b32_f16 v6, v11, v6
	;; [unrolled: 1-line block ×4, first 2 shown]
	ds_write_b32 v33, v9 offset:1980
	v_pack_b32_f16 v9, v20, v13
	v_pack_b32_f16 v10, v17, v10
	;; [unrolled: 1-line block ×4, first 2 shown]
	v_add_nc_u32_e32 v11, 0x1200, v33
	ds_write_b32 v33, v0 offset:3960
	ds_write2_b32 v33, v6, v7 offset1:165
	ds_write_b32 v33, v8 offset:1320
	ds_write2_b32 v4, v9, v10 offset0:20 offset1:185
	ds_write2_b32 v11, v1, v5 offset0:3 offset1:168
	s_waitcnt lgkmcnt(0)
	s_barrier
	buffer_gl0_inv
	ds_read2_b32 v[5:6], v33 offset1:165
	s_waitcnt lgkmcnt(0)
	v_lshrrev_b32_e32 v7, 16, v5
	v_mul_f16_sdwa v0, v43, v7 dst_sel:DWORD dst_unused:UNUSED_PAD src0_sel:WORD_1 src1_sel:DWORD
	v_fmac_f16_e32 v0, v43, v5
	v_mul_f16_sdwa v5, v43, v5 dst_sel:DWORD dst_unused:UNUSED_PAD src0_sel:WORD_1 src1_sel:DWORD
	v_cvt_f32_f16_e32 v0, v0
	v_fma_f16 v5, v43, v7, -v5
	v_cvt_f64_f32_e32 v[0:1], v0
	v_cvt_f32_f16_e32 v5, v5
	v_cvt_f64_f32_e32 v[7:8], v5
	v_mul_f64 v[9:10], v[0:1], s[4:5]
	ds_read2_b32 v[0:1], v3 offset0:74 offset1:239
	v_mul_f64 v[7:8], v[7:8], s[4:5]
	s_waitcnt lgkmcnt(0)
	v_lshrrev_b32_e32 v17, 16, v1
	v_and_or_b32 v3, 0x1ff, v10, v9
	v_lshrrev_b32_e32 v5, 8, v10
	v_bfe_u32 v9, v10, 20, 11
	v_mul_f16_sdwa v12, v42, v17 dst_sel:DWORD dst_unused:UNUSED_PAD src0_sel:WORD_1 src1_sel:DWORD
	v_cmp_ne_u32_e32 vcc_lo, 0, v3
	v_and_or_b32 v7, 0x1ff, v8, v7
	v_lshrrev_b32_e32 v13, 8, v8
	v_bfe_u32 v18, v8, 20, 11
	v_fmac_f16_e32 v12, v42, v1
	v_cndmask_b32_e64 v3, 0, 1, vcc_lo
	v_cmp_ne_u32_e32 vcc_lo, 0, v7
	v_mul_f16_sdwa v1, v42, v1 dst_sel:DWORD dst_unused:UNUSED_PAD src0_sel:WORD_1 src1_sel:DWORD
	v_add_nc_u32_e32 v23, 0xfffffc10, v18
	v_cvt_f32_f16_e32 v12, v12
	v_and_or_b32 v5, 0xffe, v5, v3
	v_sub_nc_u32_e32 v3, 0x3f1, v9
	v_cndmask_b32_e64 v7, 0, 1, vcc_lo
	v_add_nc_u32_e32 v9, 0xfffffc10, v9
	v_cmp_gt_i32_e64 s1, 1, v23
	v_or_b32_e32 v11, 0x1000, v5
	v_med3_i32 v3, v3, 0, 13
	v_and_or_b32 v7, 0xffe, v13, v7
	v_sub_nc_u32_e32 v13, 0x3f1, v18
	v_fma_f16 v1, v42, v17, -v1
	v_lshrrev_b32_e32 v15, v3, v11
	v_or_b32_e32 v19, 0x1000, v7
	v_med3_i32 v20, v13, 0, 13
	v_mad_u64_u32 v[13:14], null, s10, v16, 0
	v_lshlrev_b32_e32 v3, v3, v15
	v_cvt_f32_f16_e32 v1, v1
	v_lshrrev_b32_e32 v21, v20, v19
	v_cmp_ne_u32_e32 vcc_lo, v3, v11
	v_cvt_f64_f32_e32 v[11:12], v12
	v_cndmask_b32_e64 v3, 0, 1, vcc_lo
	v_cmp_gt_i32_e32 vcc_lo, 1, v9
	v_or_b32_e32 v3, v15, v3
	v_lshl_or_b32 v15, v9, 12, v5
	v_cndmask_b32_e32 v22, v15, v3, vcc_lo
	v_lshlrev_b32_e32 v15, v20, v21
	v_mov_b32_e32 v3, v14
	v_and_b32_e32 v20, 7, v22
	v_cmp_ne_u32_e32 vcc_lo, v15, v19
	v_mad_u64_u32 v[14:15], null, s11, v16, v[3:4]
	v_lshl_or_b32 v15, v23, 12, v7
	v_cmp_eq_u32_e64 s0, 3, v20
	v_cndmask_b32_e64 v19, 0, 1, vcc_lo
	v_cmp_lt_i32_e32 vcc_lo, 5, v20
	v_lshrrev_b32_e32 v16, 2, v22
	v_mul_f64 v[11:12], v[11:12], s[4:5]
	v_lshrrev_b32_e32 v22, 16, v10
	v_or_b32_e32 v3, v21, v19
	s_or_b32 vcc_lo, s0, vcc_lo
	v_cndmask_b32_e64 v3, v15, v3, s1
	v_add_co_ci_u32_e32 v15, vcc_lo, 0, v16, vcc_lo
	v_cmp_ne_u32_e32 vcc_lo, 0, v5
	v_cmp_eq_u32_e64 s1, 0x40f, v9
	v_and_b32_e32 v16, 7, v3
	v_cndmask_b32_e64 v5, 0, 1, vcc_lo
	v_cmp_gt_i32_e32 vcc_lo, 31, v9
	v_cmp_eq_u32_e64 s0, 3, v16
	v_lshl_or_b32 v5, v5, 9, 0x7c00
	v_cndmask_b32_e32 v17, 0x7c00, v15, vcc_lo
	v_cmp_lt_i32_e32 vcc_lo, 5, v16
	v_cvt_f64_f32_e32 v[15:16], v1
	v_lshrrev_b32_e32 v1, 2, v3
	v_and_or_b32 v3, 0x1ff, v12, v11
	v_lshrrev_b32_e32 v9, 8, v12
	s_or_b32 vcc_lo, s0, vcc_lo
	v_bfe_u32 v19, v12, 20, 11
	v_add_co_ci_u32_e32 v1, vcc_lo, 0, v1, vcc_lo
	v_cmp_ne_u32_e32 vcc_lo, 0, v3
	v_cndmask_b32_e64 v5, v17, v5, s1
	v_mad_u64_u32 v[17:18], null, s8, v40, 0
	v_lshrrev_b32_e32 v12, 16, v12
	v_cndmask_b32_e64 v3, 0, 1, vcc_lo
	v_cmp_gt_i32_e32 vcc_lo, 31, v23
	v_and_or_b32 v5, 0x8000, v22, v5
	v_and_or_b32 v20, 0xffe, v9, v3
	ds_read2_b32 v[2:3], v2 offset0:30 offset1:195
	v_cndmask_b32_e32 v11, 0x7c00, v1, vcc_lo
	v_cmp_ne_u32_e32 vcc_lo, 0, v7
	v_mul_f64 v[15:16], v[15:16], s[4:5]
	v_sub_nc_u32_e32 v7, 0x3f1, v19
	v_or_b32_e32 v21, 0x1000, v20
	v_and_b32_e32 v5, 0xffff, v5
	v_cndmask_b32_e64 v1, 0, 1, vcc_lo
	v_cmp_eq_u32_e32 vcc_lo, 0x40f, v23
	v_med3_i32 v7, v7, 0, 13
	v_lshl_or_b32 v9, v1, 9, 0x7c00
	v_mov_b32_e32 v1, v18
	v_lshrrev_b32_e32 v23, v7, v21
	v_cndmask_b32_e32 v11, v11, v9, vcc_lo
	v_lshlrev_b32_e32 v7, v7, v23
	s_waitcnt lgkmcnt(0)
	v_mad_u64_u32 v[9:10], null, s9, v40, v[1:2]
	v_lshrrev_b32_e32 v1, 16, v8
	v_cmp_ne_u32_e32 vcc_lo, v7, v21
	v_and_or_b32 v8, 0x1ff, v16, v15
	v_lshrrev_b32_e32 v15, 8, v16
	v_and_or_b32 v1, 0x8000, v1, v11
	v_add_nc_u32_e32 v11, 0xfffffc10, v19
	v_lshrrev_b32_e32 v19, 16, v2
	v_cndmask_b32_e64 v7, 0, 1, vcc_lo
	v_cmp_ne_u32_e32 vcc_lo, 0, v8
	v_mov_b32_e32 v18, v9
	v_lshl_or_b32 v9, v11, 12, v20
	v_mul_f16_sdwa v10, v41, v19 dst_sel:DWORD dst_unused:UNUSED_PAD src0_sel:WORD_1 src1_sel:DWORD
	v_or_b32_e32 v7, v23, v7
	v_cndmask_b32_e64 v8, 0, 1, vcc_lo
	v_bfe_u32 v21, v16, 20, 11
	v_cmp_gt_i32_e32 vcc_lo, 1, v11
	v_fmac_f16_e32 v10, v41, v2
	v_lshl_or_b32 v23, v1, 16, v5
	v_and_or_b32 v15, 0xffe, v15, v8
	v_lshrrev_b32_e32 v16, 16, v16
	v_cndmask_b32_e32 v22, v9, v7, vcc_lo
	v_sub_nc_u32_e32 v7, 0x3f1, v21
	v_cvt_f32_f16_e32 v1, v10
	v_or_b32_e32 v24, 0x1000, v15
	v_add_nc_u32_e32 v21, 0xfffffc10, v21
	v_and_b32_e32 v5, 7, v22
	v_med3_i32 v25, v7, 0, 13
	v_lshlrev_b64 v[7:8], 2, v[13:14]
	v_cvt_f64_f32_e32 v[9:10], v1
	v_mul_f16_sdwa v1, v41, v2 dst_sel:DWORD dst_unused:UNUSED_PAD src0_sel:WORD_1 src1_sel:DWORD
	v_cmp_lt_i32_e32 vcc_lo, 5, v5
	v_cmp_eq_u32_e64 s0, 3, v5
	v_lshrrev_b32_e32 v5, v25, v24
	v_lshrrev_b32_e32 v2, 2, v22
	v_add_co_u32 v13, s1, s2, v7
	s_or_b32 vcc_lo, s0, vcc_lo
	v_lshlrev_b32_e32 v7, v25, v5
	v_fma_f16 v1, v41, v19, -v1
	v_add_co_ci_u32_e32 v19, vcc_lo, 0, v2, vcc_lo
	v_add_co_ci_u32_e64 v14, s1, s3, v8, s1
	v_cmp_ne_u32_e32 vcc_lo, v7, v24
	v_cvt_f32_f16_e32 v1, v1
	s_mul_hi_u32 s3, s8, 0x7bc
	v_cndmask_b32_e64 v22, 0, 1, vcc_lo
	v_cmp_ne_u32_e32 vcc_lo, 0, v20
	v_cvt_f64_f32_e32 v[1:2], v1
	v_mul_f64 v[7:8], v[9:10], s[4:5]
	v_lshl_or_b32 v9, v21, 12, v15
	v_or_b32_e32 v5, v5, v22
	v_cndmask_b32_e64 v20, 0, 1, vcc_lo
	v_cmp_gt_i32_e32 vcc_lo, 31, v11
	v_lshl_or_b32 v20, v20, 9, 0x7c00
	v_cndmask_b32_e32 v19, 0x7c00, v19, vcc_lo
	v_cmp_gt_i32_e32 vcc_lo, 1, v21
	v_cndmask_b32_e32 v5, v9, v5, vcc_lo
	v_lshlrev_b64 v[9:10], 2, v[17:18]
	v_cmp_eq_u32_e32 vcc_lo, 0x40f, v11
	v_and_b32_e32 v17, 7, v5
	v_lshrrev_b32_e32 v5, 2, v5
	v_cndmask_b32_e32 v11, v19, v20, vcc_lo
	v_add_co_u32 v9, vcc_lo, v13, v9
	v_add_co_ci_u32_e32 v10, vcc_lo, v14, v10, vcc_lo
	v_cmp_lt_i32_e32 vcc_lo, 5, v17
	v_cmp_eq_u32_e64 s0, 3, v17
	v_and_or_b32 v13, 0x8000, v12, v11
	v_mul_f64 v[11:12], v[1:2], s[4:5]
	v_and_or_b32 v1, 0x1ff, v8, v7
	v_lshrrev_b32_e32 v7, 8, v8
	s_or_b32 vcc_lo, s0, vcc_lo
	v_bfe_u32 v14, v8, 20, 11
	v_add_co_ci_u32_e32 v2, vcc_lo, 0, v5, vcc_lo
	v_cmp_ne_u32_e32 vcc_lo, 0, v1
	v_lshrrev_b32_e32 v5, 16, v6
	s_mul_i32 s0, s9, 0x7bc
	v_lshrrev_b32_e32 v8, 16, v8
	s_add_i32 s3, s3, s0
	v_cndmask_b32_e64 v1, 0, 1, vcc_lo
	v_cmp_ne_u32_e32 vcc_lo, 0, v15
	v_mul_f16_sdwa v17, v39, v5 dst_sel:DWORD dst_unused:UNUSED_PAD src0_sel:WORD_1 src1_sel:DWORD
	global_store_dword v[9:10], v23, off
	v_and_or_b32 v7, 0xffe, v7, v1
	v_cndmask_b32_e64 v15, 0, 1, vcc_lo
	v_cmp_gt_i32_e32 vcc_lo, 31, v21
	v_fmac_f16_e32 v17, v39, v6
	v_sub_nc_u32_e32 v1, 0x3f1, v14
	v_and_or_b32 v11, 0x1ff, v12, v11
	v_lshl_or_b32 v15, v15, 9, 0x7c00
	v_cndmask_b32_e32 v2, 0x7c00, v2, vcc_lo
	v_cmp_eq_u32_e32 vcc_lo, 0x40f, v21
	v_cvt_f32_f16_e32 v17, v17
	v_or_b32_e32 v18, 0x1000, v7
	v_med3_i32 v19, v1, 0, 13
	v_lshrrev_b32_e32 v20, 8, v12
	v_cndmask_b32_e32 v15, v2, v15, vcc_lo
	v_cmp_ne_u32_e32 vcc_lo, 0, v11
	v_cvt_f64_f32_e32 v[1:2], v17
	v_lshrrev_b32_e32 v17, v19, v18
	v_bfe_u32 v21, v12, 20, 11
	v_and_or_b32 v15, 0x8000, v16, v15
	v_cndmask_b32_e64 v11, 0, 1, vcc_lo
	v_and_b32_e32 v16, 0xffff, v13
	v_lshlrev_b32_e32 v19, v19, v17
	v_sub_nc_u32_e32 v13, 0x3f1, v21
	v_lshrrev_b32_e32 v12, 16, v12
	v_and_or_b32 v11, 0xffe, v20, v11
	v_cmp_ne_u32_e32 vcc_lo, v19, v18
	v_med3_i32 v22, v13, 0, 13
	v_add_nc_u32_e32 v19, 0xfffffc10, v14
	v_or_b32_e32 v20, 0x1000, v11
	v_cndmask_b32_e64 v18, 0, 1, vcc_lo
	v_cmp_gt_i32_e32 vcc_lo, 1, v19
	v_lshrrev_b32_e32 v24, v22, v20
	v_or_b32_e32 v17, v17, v18
	v_lshl_or_b32 v18, v19, 12, v7
	v_mul_f64 v[13:14], v[1:2], s[4:5]
	v_lshlrev_b32_e32 v2, v22, v24
	v_mul_f16_sdwa v1, v39, v6 dst_sel:DWORD dst_unused:UNUSED_PAD src0_sel:WORD_1 src1_sel:DWORD
	v_cndmask_b32_e32 v17, v18, v17, vcc_lo
	v_lshl_or_b32 v18, v15, 16, v16
	v_cmp_ne_u32_e32 vcc_lo, v2, v20
	v_fma_f16 v1, v39, v5, -v1
	v_add_nc_u32_e32 v15, 0xfffffc10, v21
	v_and_b32_e32 v6, 7, v17
	v_cndmask_b32_e64 v2, 0, 1, vcc_lo
	v_cvt_f32_f16_e32 v1, v1
	v_lshl_or_b32 v16, v15, 12, v11
	v_cmp_lt_i32_e32 vcc_lo, 5, v6
	v_cmp_eq_u32_e64 s0, 3, v6
	v_lshrrev_b32_e32 v6, 2, v17
	v_or_b32_e32 v5, v24, v2
	v_cmp_gt_i32_e64 s1, 1, v15
	v_cvt_f64_f32_e32 v[1:2], v1
	s_or_b32 vcc_lo, s0, vcc_lo
	v_add_co_ci_u32_e32 v6, vcc_lo, 0, v6, vcc_lo
	v_cndmask_b32_e64 v16, v16, v5, s1
	v_and_or_b32 v5, 0x1ff, v14, v13
	v_cmp_ne_u32_e32 vcc_lo, 0, v7
	v_lshrrev_b32_e32 v17, 8, v14
	v_bfe_u32 v20, v14, 20, 11
	v_and_b32_e32 v13, 7, v16
	v_cmp_eq_u32_e64 s1, 0x40f, v19
	v_cndmask_b32_e64 v7, 0, 1, vcc_lo
	v_cmp_ne_u32_e32 vcc_lo, 0, v5
	v_sub_nc_u32_e32 v22, 0x3f1, v20
	v_cmp_eq_u32_e64 s0, 3, v13
	v_lshl_or_b32 v7, v7, 9, 0x7c00
	v_cndmask_b32_e64 v5, 0, 1, vcc_lo
	v_cmp_gt_i32_e32 vcc_lo, 31, v19
	v_med3_i32 v22, v22, 0, 13
	v_and_or_b32 v17, 0xffe, v17, v5
	v_cndmask_b32_e32 v21, 0x7c00, v6, vcc_lo
	v_cmp_lt_i32_e32 vcc_lo, 5, v13
	v_mul_f64 v[5:6], v[1:2], s[4:5]
	ds_read2_b32 v[1:2], v4 offset0:20 offset1:185
	v_or_b32_e32 v13, 0x1000, v17
	v_cndmask_b32_e64 v4, v21, v7, s1
	v_lshrrev_b32_e32 v7, 2, v16
	s_or_b32 vcc_lo, s0, vcc_lo
	v_lshrrev_b32_e32 v16, v22, v13
	v_and_or_b32 v21, 0x8000, v8, v4
	v_add_co_ci_u32_e32 v7, vcc_lo, 0, v7, vcc_lo
	v_cmp_ne_u32_e32 vcc_lo, 0, v11
	v_lshlrev_b32_e32 v19, v22, v16
	v_cndmask_b32_e64 v11, 0, 1, vcc_lo
	v_cmp_gt_i32_e32 vcc_lo, 31, v15
	v_cndmask_b32_e32 v4, 0x7c00, v7, vcc_lo
	v_cmp_ne_u32_e32 vcc_lo, v19, v13
	v_lshl_or_b32 v7, v11, 9, 0x7c00
	v_and_or_b32 v5, 0x1ff, v6, v5
	s_waitcnt lgkmcnt(0)
	v_lshrrev_b32_e32 v11, 16, v1
	v_add_nc_u32_e32 v13, 0xfffffc10, v20
	v_cndmask_b32_e64 v8, 0, 1, vcc_lo
	v_cmp_eq_u32_e32 vcc_lo, 0x40f, v15
	v_bfe_u32 v19, v6, 20, 11
	v_cndmask_b32_e32 v15, v4, v7, vcc_lo
	v_or_b32_e32 v4, v16, v8
	v_mul_f16_sdwa v8, v38, v11 dst_sel:DWORD dst_unused:UNUSED_PAD src0_sel:WORD_1 src1_sel:DWORD
	v_cmp_ne_u32_e32 vcc_lo, 0, v5
	v_lshl_or_b32 v7, v13, 12, v17
	v_lshrrev_b32_e32 v16, 8, v6
	v_and_or_b32 v12, 0x8000, v12, v15
	v_fmac_f16_e32 v8, v38, v1
	v_cndmask_b32_e64 v5, 0, 1, vcc_lo
	v_cmp_gt_i32_e32 vcc_lo, 1, v13
	v_and_b32_e32 v15, 0xffff, v21
	v_mul_f16_sdwa v1, v38, v1 dst_sel:DWORD dst_unused:UNUSED_PAD src0_sel:WORD_1 src1_sel:DWORD
	v_and_or_b32 v22, 0xffe, v16, v5
	v_cndmask_b32_e32 v20, v7, v4, vcc_lo
	v_sub_nc_u32_e32 v4, 0x3f1, v19
	v_cvt_f32_f16_e32 v5, v8
	v_add_co_u32 v7, vcc_lo, v9, s6
	v_and_b32_e32 v16, 7, v20
	v_med3_i32 v25, v4, 0, 13
	v_cvt_f64_f32_e32 v[4:5], v5
	v_or_b32_e32 v24, 0x1000, v22
	v_add_co_ci_u32_e32 v8, vcc_lo, s3, v10, vcc_lo
	v_cmp_lt_i32_e32 vcc_lo, 5, v16
	v_cmp_eq_u32_e64 s0, 3, v16
	v_lshl_or_b32 v26, v12, 16, v15
	v_lshrrev_b32_e32 v12, 2, v20
	v_lshrrev_b32_e32 v21, v25, v24
	v_fma_f16 v1, v38, v11, -v1
	s_or_b32 vcc_lo, s0, vcc_lo
	v_add_nc_u32_e32 v19, 0xfffffc10, v19
	v_add_co_ci_u32_e32 v16, vcc_lo, 0, v12, vcc_lo
	v_lshlrev_b32_e32 v15, v25, v21
	v_cmp_ne_u32_e32 vcc_lo, 0, v17
	v_cvt_f32_f16_e32 v1, v1
	v_cndmask_b32_e64 v17, 0, 1, vcc_lo
	v_cmp_ne_u32_e32 vcc_lo, v15, v24
	v_mul_f64 v[4:5], v[4:5], s[4:5]
	v_cvt_f64_f32_e32 v[11:12], v1
	v_lshl_or_b32 v17, v17, 9, 0x7c00
	v_cndmask_b32_e64 v15, 0, 1, vcc_lo
	v_cmp_gt_i32_e32 vcc_lo, 31, v13
	v_or_b32_e32 v20, v21, v15
	v_cndmask_b32_e32 v1, 0x7c00, v16, vcc_lo
	v_add_co_u32 v15, vcc_lo, v7, s6
	v_add_co_ci_u32_e32 v16, vcc_lo, s3, v8, vcc_lo
	v_lshl_or_b32 v21, v19, 12, v22
	v_cmp_gt_i32_e32 vcc_lo, 1, v19
	global_store_dword v[7:8], v18, off
	global_store_dword v[15:16], v26, off
	v_cndmask_b32_e32 v20, v21, v20, vcc_lo
	v_cmp_eq_u32_e32 vcc_lo, 0x40f, v13
	v_and_or_b32 v4, 0x1ff, v5, v4
	v_mul_f64 v[7:8], v[11:12], s[4:5]
	v_lshrrev_b32_e32 v13, 16, v14
	v_and_b32_e32 v9, 7, v20
	v_cndmask_b32_e32 v1, v1, v17, vcc_lo
	v_cmp_ne_u32_e64 s1, 0, v4
	v_lshrrev_b32_e32 v10, 8, v5
	v_bfe_u32 v11, v5, 20, 11
	v_cmp_lt_i32_e32 vcc_lo, 5, v9
	v_cmp_eq_u32_e64 s0, 3, v9
	v_lshrrev_b32_e32 v9, 2, v20
	v_cndmask_b32_e64 v4, 0, 1, s1
	v_and_or_b32 v1, 0x8000, v13, v1
	v_lshrrev_b32_e32 v13, 16, v3
	s_or_b32 vcc_lo, s0, vcc_lo
	s_mul_i32 s0, s9, 0xfffff31c
	v_add_co_ci_u32_e32 v9, vcc_lo, 0, v9, vcc_lo
	v_cmp_ne_u32_e32 vcc_lo, 0, v22
	v_and_or_b32 v12, 0xffe, v10, v4
	v_sub_nc_u32_e32 v4, 0x3f1, v11
	v_mul_f16_sdwa v17, v37, v13 dst_sel:DWORD dst_unused:UNUSED_PAD src0_sel:WORD_1 src1_sel:DWORD
	v_add_nc_u32_e32 v11, 0xfffffc10, v11
	v_cndmask_b32_e64 v10, 0, 1, vcc_lo
	v_cmp_gt_i32_e32 vcc_lo, 31, v19
	v_or_b32_e32 v14, 0x1000, v12
	v_med3_i32 v4, v4, 0, 13
	v_fmac_f16_e32 v17, v37, v3
	v_lshl_or_b32 v10, v10, 9, 0x7c00
	v_cndmask_b32_e32 v9, 0x7c00, v9, vcc_lo
	v_cmp_eq_u32_e32 vcc_lo, 0x40f, v19
	v_lshrrev_b32_e32 v18, v4, v14
	v_and_or_b32 v7, 0x1ff, v8, v7
	v_lshrrev_b32_e32 v19, 8, v8
	v_bfe_u32 v20, v8, 20, 11
	v_cndmask_b32_e32 v9, v9, v10, vcc_lo
	v_lshrrev_b32_e32 v10, 16, v6
	v_cvt_f32_f16_e32 v6, v17
	v_lshlrev_b32_e32 v4, v4, v18
	v_cmp_ne_u32_e32 vcc_lo, 0, v7
	v_mul_f16_sdwa v22, v37, v3 dst_sel:DWORD dst_unused:UNUSED_PAD src0_sel:WORD_1 src1_sel:DWORD
	s_sub_i32 s7, s0, s8
	v_cvt_f64_f32_e32 v[6:7], v6
	v_and_b32_e32 v1, 0xffff, v1
	v_cndmask_b32_e64 v17, 0, 1, vcc_lo
	v_cmp_ne_u32_e32 vcc_lo, v4, v14
	v_and_or_b32 v14, 0x8000, v10, v9
	v_sub_nc_u32_e32 v9, 0x3f1, v20
	v_lshl_or_b32 v10, v11, 12, v12
	v_and_or_b32 v17, 0xffe, v19, v17
	v_cndmask_b32_e64 v4, 0, 1, vcc_lo
	v_cmp_gt_i32_e32 vcc_lo, 1, v11
	v_med3_i32 v19, v9, 0, 13
	v_lshl_or_b32 v1, v14, 16, v1
	v_lshrrev_b32_e32 v8, 16, v8
	v_or_b32_e32 v4, v18, v4
	v_or_b32_e32 v18, 0x1000, v17
	v_cndmask_b32_e32 v21, v10, v4, vcc_lo
	v_mad_u64_u32 v[9:10], null, 0xfffff31c, s8, v[15:16]
	v_lshrrev_b32_e32 v15, v19, v18
	v_mul_f64 v[3:4], v[6:7], s[4:5]
	v_and_b32_e32 v16, 7, v21
	v_fma_f16 v7, v37, v13, -v22
	v_lshrrev_b32_e32 v14, 2, v21
	v_lshlrev_b32_e32 v6, v19, v15
	v_add_nc_u32_e32 v13, 0xfffffc10, v20
	v_cmp_lt_i32_e32 vcc_lo, 5, v16
	v_cvt_f32_f16_e32 v7, v7
	v_add_nc_u32_e32 v10, s7, v10
	v_cmp_ne_u32_e64 s0, v6, v18
	global_store_dword v[9:10], v1, off
	v_cndmask_b32_e64 v6, 0, 1, s0
	v_cmp_eq_u32_e64 s0, 3, v16
	v_lshl_or_b32 v16, v13, 12, v17
	v_or_b32_e32 v15, v15, v6
	s_or_b32 vcc_lo, s0, vcc_lo
	v_cvt_f64_f32_e32 v[6:7], v7
	v_add_co_ci_u32_e32 v14, vcc_lo, 0, v14, vcc_lo
	v_cmp_ne_u32_e32 vcc_lo, 0, v12
	v_and_or_b32 v3, 0x1ff, v4, v3
	v_lshrrev_b32_e32 v18, 8, v4
	v_bfe_u32 v19, v4, 20, 11
	v_cndmask_b32_e64 v12, 0, 1, vcc_lo
	v_cmp_gt_i32_e32 vcc_lo, 1, v13
	v_lshl_or_b32 v12, v12, 9, 0x7c00
	v_cndmask_b32_e32 v15, v16, v15, vcc_lo
	v_cmp_gt_i32_e32 vcc_lo, 31, v11
	v_and_b32_e32 v16, 7, v15
	v_cndmask_b32_e32 v14, 0x7c00, v14, vcc_lo
	v_cmp_ne_u32_e32 vcc_lo, 0, v3
	v_cmp_eq_u32_e64 s0, 3, v16
	v_cndmask_b32_e64 v3, 0, 1, vcc_lo
	v_cmp_eq_u32_e32 vcc_lo, 0x40f, v11
	v_and_or_b32 v3, 0xffe, v18, v3
	v_cndmask_b32_e32 v11, v14, v12, vcc_lo
	v_cmp_lt_i32_e32 vcc_lo, 5, v16
	v_lshrrev_b32_e32 v12, 16, v5
	v_mul_f64 v[5:6], v[6:7], s[4:5]
	v_lshrrev_b32_e32 v7, 2, v15
	v_sub_nc_u32_e32 v14, 0x3f1, v19
	v_lshrrev_b32_e32 v18, 16, v0
	s_or_b32 vcc_lo, s0, vcc_lo
	v_or_b32_e32 v15, 0x1000, v3
	v_add_co_ci_u32_e32 v7, vcc_lo, 0, v7, vcc_lo
	v_med3_i32 v14, v14, 0, 13
	v_cmp_ne_u32_e32 vcc_lo, 0, v17
	v_mul_f16_sdwa v16, v36, v18 dst_sel:DWORD dst_unused:UNUSED_PAD src0_sel:WORD_1 src1_sel:DWORD
	v_and_or_b32 v21, 0x8000, v12, v11
	v_lshrrev_b32_e32 v20, v14, v15
	v_cndmask_b32_e64 v17, 0, 1, vcc_lo
	v_cmp_gt_i32_e32 vcc_lo, 31, v13
	v_fmac_f16_e32 v16, v36, v0
	v_lshlrev_b32_e32 v14, v14, v20
	v_lshl_or_b32 v17, v17, 9, 0x7c00
	v_cndmask_b32_e32 v7, 0x7c00, v7, vcc_lo
	v_cmp_eq_u32_e32 vcc_lo, 0x40f, v13
	v_cvt_f32_f16_e32 v11, v16
	v_and_or_b32 v5, 0x1ff, v6, v5
	v_bfe_u32 v16, v6, 20, 11
	v_cndmask_b32_e32 v7, v7, v17, vcc_lo
	v_cmp_ne_u32_e32 vcc_lo, v14, v15
	v_cvt_f64_f32_e32 v[11:12], v11
	v_lshrrev_b32_e32 v15, 8, v6
	v_add_nc_u32_e32 v14, 0xfffffc10, v19
	v_and_or_b32 v7, 0x8000, v8, v7
	v_cndmask_b32_e64 v13, 0, 1, vcc_lo
	v_cmp_ne_u32_e32 vcc_lo, 0, v5
	v_and_b32_e32 v17, 0xffff, v21
	v_lshrrev_b32_e32 v6, 16, v6
	v_or_b32_e32 v8, v20, v13
	v_cndmask_b32_e64 v5, 0, 1, vcc_lo
	v_lshl_or_b32 v13, v14, 12, v3
	v_cmp_gt_i32_e32 vcc_lo, 1, v14
	v_lshl_or_b32 v17, v7, 16, v17
	v_and_or_b32 v5, 0xffe, v15, v5
	v_sub_nc_u32_e32 v15, 0x3f1, v16
	v_cndmask_b32_e32 v13, v13, v8, vcc_lo
	v_or_b32_e32 v19, 0x1000, v5
	v_med3_i32 v15, v15, 0, 13
	v_mul_f64 v[7:8], v[11:12], s[4:5]
	v_and_b32_e32 v20, 7, v13
	v_mul_f16_sdwa v12, v36, v0 dst_sel:DWORD dst_unused:UNUSED_PAD src0_sel:WORD_1 src1_sel:DWORD
	v_add_co_u32 v0, vcc_lo, v9, s6
	v_lshrrev_b32_e32 v11, v15, v19
	v_add_co_ci_u32_e32 v1, vcc_lo, s3, v10, vcc_lo
	v_cmp_lt_i32_e32 vcc_lo, 5, v20
	v_cmp_eq_u32_e64 s0, 3, v20
	v_lshlrev_b32_e32 v9, v15, v11
	v_fma_f16 v10, v36, v18, -v12
	v_lshrrev_b32_e32 v12, 2, v13
	v_add_nc_u32_e32 v15, 0xfffffc10, v16
	s_or_b32 vcc_lo, s0, vcc_lo
	v_cmp_ne_u32_e64 s1, v9, v19
	v_cvt_f32_f16_e32 v9, v10
	v_add_co_ci_u32_e32 v12, vcc_lo, 0, v12, vcc_lo
	v_cmp_ne_u32_e32 vcc_lo, 0, v3
	v_cndmask_b32_e64 v13, 0, 1, s1
	v_cvt_f64_f32_e32 v[9:10], v9
	v_and_or_b32 v7, 0x1ff, v8, v7
	v_bfe_u32 v16, v8, 20, 11
	v_cndmask_b32_e64 v3, 0, 1, vcc_lo
	v_or_b32_e32 v11, v11, v13
	v_lshl_or_b32 v13, v15, 12, v5
	v_cmp_gt_i32_e32 vcc_lo, 1, v15
	v_lshl_or_b32 v3, v3, 9, 0x7c00
	v_cndmask_b32_e32 v11, v13, v11, vcc_lo
	v_cmp_ne_u32_e32 vcc_lo, 0, v7
	v_lshrrev_b32_e32 v13, 8, v8
	v_lshrrev_b32_e32 v8, 16, v8
	v_and_b32_e32 v18, 7, v11
	v_cndmask_b32_e64 v7, 0, 1, vcc_lo
	v_cmp_gt_i32_e32 vcc_lo, 31, v14
	v_cmp_eq_u32_e64 s0, 3, v18
	v_and_or_b32 v7, 0xffe, v13, v7
	v_cndmask_b32_e32 v12, 0x7c00, v12, vcc_lo
	v_cmp_eq_u32_e32 vcc_lo, 0x40f, v14
	v_sub_nc_u32_e32 v13, 0x3f1, v16
	v_mul_f64 v[9:10], v[9:10], s[4:5]
	v_lshrrev_b32_e32 v14, 16, v4
	v_lshrrev_b32_e32 v4, 2, v11
	v_cndmask_b32_e32 v12, v12, v3, vcc_lo
	v_cmp_lt_i32_e32 vcc_lo, 5, v18
	v_or_b32_e32 v3, 0x1000, v7
	v_med3_i32 v13, v13, 0, 13
	v_lshrrev_b32_e32 v11, 16, v2
	v_and_or_b32 v12, 0x8000, v14, v12
	s_or_b32 vcc_lo, s0, vcc_lo
	v_add_co_ci_u32_e32 v4, vcc_lo, 0, v4, vcc_lo
	v_lshrrev_b32_e32 v18, v13, v3
	v_cmp_ne_u32_e32 vcc_lo, 0, v5
	v_mul_f16_sdwa v19, v35, v11 dst_sel:DWORD dst_unused:UNUSED_PAD src0_sel:WORD_1 src1_sel:DWORD
	v_lshlrev_b32_e32 v13, v13, v18
	v_cndmask_b32_e64 v5, 0, 1, vcc_lo
	v_cmp_gt_i32_e32 vcc_lo, 31, v15
	v_fmac_f16_e32 v19, v35, v2
	v_and_or_b32 v9, 0x1ff, v10, v9
	v_mul_f16_sdwa v2, v35, v2 dst_sel:DWORD dst_unused:UNUSED_PAD src0_sel:WORD_1 src1_sel:DWORD
	v_lshl_or_b32 v5, v5, 9, 0x7c00
	v_cndmask_b32_e32 v4, 0x7c00, v4, vcc_lo
	v_cmp_ne_u32_e32 vcc_lo, v13, v3
	v_add_nc_u32_e32 v13, 0xfffffc10, v16
	v_cvt_f32_f16_e32 v16, v19
	v_bfe_u32 v19, v10, 20, 11
	v_fma_f16 v2, v35, v11, -v2
	v_cndmask_b32_e64 v3, 0, 1, vcc_lo
	v_cmp_eq_u32_e32 vcc_lo, 0x40f, v15
	ds_read_b32 v11, v33 offset:5280
	v_sub_nc_u32_e32 v14, 0x3f1, v19
	v_cvt_f32_f16_e32 v2, v2
	v_or_b32_e32 v15, v18, v3
	v_cndmask_b32_e32 v5, v4, v5, vcc_lo
	v_cmp_ne_u32_e32 vcc_lo, 0, v9
	v_cvt_f64_f32_e32 v[3:4], v16
	v_lshl_or_b32 v16, v13, 12, v7
	v_lshrrev_b32_e32 v18, 8, v10
	v_and_or_b32 v5, 0x8000, v6, v5
	v_cndmask_b32_e64 v9, 0, 1, vcc_lo
	v_cmp_gt_i32_e32 vcc_lo, 1, v13
	v_and_b32_e32 v6, 0xffff, v12
	v_med3_i32 v14, v14, 0, 13
	v_lshrrev_b32_e32 v10, 16, v10
	v_and_or_b32 v9, 0xffe, v18, v9
	v_cndmask_b32_e32 v15, v16, v15, vcc_lo
	v_or_b32_e32 v12, 0x1000, v9
	v_and_b32_e32 v16, 7, v15
	v_cmp_lt_i32_e32 vcc_lo, 5, v16
	v_cmp_eq_u32_e64 s0, 3, v16
	v_lshl_or_b32 v16, v5, 16, v6
	v_lshrrev_b32_e32 v5, 2, v15
	v_mul_f64 v[3:4], v[3:4], s[4:5]
	v_lshrrev_b32_e32 v15, v14, v12
	s_or_b32 vcc_lo, s0, vcc_lo
	v_add_co_ci_u32_e32 v18, vcc_lo, 0, v5, vcc_lo
	v_add_co_u32 v5, vcc_lo, v0, s6
	v_add_co_ci_u32_e32 v6, vcc_lo, s3, v1, vcc_lo
	v_lshlrev_b32_e32 v14, v14, v15
	v_cmp_gt_i32_e32 vcc_lo, 31, v13
	v_cndmask_b32_e32 v18, 0x7c00, v18, vcc_lo
	v_cmp_ne_u32_e32 vcc_lo, v14, v12
	v_add_nc_u32_e32 v14, 0xfffffc10, v19
	v_cndmask_b32_e64 v12, 0, 1, vcc_lo
	v_cmp_ne_u32_e32 vcc_lo, 0, v7
	v_and_or_b32 v19, 0x1ff, v4, v3
	v_cvt_f64_f32_e32 v[2:3], v2
	v_bfe_u32 v20, v4, 20, 11
	v_or_b32_e32 v12, v15, v12
	v_cndmask_b32_e64 v7, 0, 1, vcc_lo
	v_lshl_or_b32 v15, v14, 12, v9
	v_cmp_gt_i32_e32 vcc_lo, 1, v14
	v_lshl_or_b32 v7, v7, 9, 0x7c00
	v_cndmask_b32_e32 v12, v15, v12, vcc_lo
	v_cmp_ne_u32_e32 vcc_lo, 0, v19
	v_lshrrev_b32_e32 v19, 8, v4
	v_lshrrev_b32_e32 v4, 16, v4
	v_cndmask_b32_e64 v15, 0, 1, vcc_lo
	v_cmp_eq_u32_e32 vcc_lo, 0x40f, v13
	v_and_or_b32 v13, 0xffe, v19, v15
	v_cndmask_b32_e32 v7, v18, v7, vcc_lo
	v_sub_nc_u32_e32 v15, 0x3f1, v20
	v_and_b32_e32 v18, 7, v12
	s_waitcnt lgkmcnt(0)
	v_lshrrev_b32_e32 v19, 16, v11
	v_or_b32_e32 v22, 0x1000, v13
	v_and_or_b32 v21, 0x8000, v8, v7
	v_med3_i32 v7, v15, 0, 13
	v_cmp_lt_i32_e32 vcc_lo, 5, v18
	v_cmp_eq_u32_e64 s0, 3, v18
	v_lshrrev_b32_e32 v12, 2, v12
	v_mul_f16_sdwa v8, v34, v19 dst_sel:DWORD dst_unused:UNUSED_PAD src0_sel:WORD_1 src1_sel:DWORD
	v_lshrrev_b32_e32 v15, v7, v22
	v_mul_f64 v[2:3], v[2:3], s[4:5]
	s_or_b32 vcc_lo, s0, vcc_lo
	v_add_co_ci_u32_e32 v12, vcc_lo, 0, v12, vcc_lo
	v_lshlrev_b32_e32 v18, v7, v15
	v_cmp_ne_u32_e32 vcc_lo, 0, v9
	v_fmac_f16_e32 v8, v34, v11
	v_mul_f16_sdwa v11, v34, v11 dst_sel:DWORD dst_unused:UNUSED_PAD src0_sel:WORD_1 src1_sel:DWORD
	v_cndmask_b32_e64 v9, 0, 1, vcc_lo
	v_cmp_ne_u32_e32 vcc_lo, v18, v22
	v_cvt_f32_f16_e32 v8, v8
	v_fma_f16 v11, v34, v19, -v11
	v_add_nc_u32_e32 v19, 0xfffffc10, v20
	v_lshl_or_b32 v9, v9, 9, 0x7c00
	v_cndmask_b32_e64 v18, 0, 1, vcc_lo
	v_cmp_gt_i32_e32 vcc_lo, 31, v14
	v_cvt_f64_f32_e32 v[7:8], v8
	v_cvt_f32_f16_e32 v11, v11
	v_or_b32_e32 v15, v15, v18
	v_cndmask_b32_e32 v20, 0x7c00, v12, vcc_lo
	v_cmp_eq_u32_e32 vcc_lo, 0x40f, v14
	v_cvt_f64_f32_e32 v[11:12], v11
	v_lshl_or_b32 v18, v19, 12, v13
	v_and_or_b32 v2, 0x1ff, v3, v2
	v_cndmask_b32_e32 v9, v20, v9, vcc_lo
	v_cmp_gt_i32_e32 vcc_lo, 1, v19
	v_and_or_b32 v22, 0x8000, v10, v9
	v_cndmask_b32_e32 v14, v18, v15, vcc_lo
	v_cmp_ne_u32_e32 vcc_lo, 0, v2
	v_bfe_u32 v18, v3, 20, 11
	v_lshrrev_b32_e32 v15, 8, v3
	v_lshrrev_b32_e32 v3, 16, v3
	v_and_b32_e32 v20, 7, v14
	v_cndmask_b32_e64 v2, 0, 1, vcc_lo
	v_mul_f64 v[7:8], v[7:8], s[4:5]
	v_sub_nc_u32_e32 v9, 0x3f1, v18
	v_lshrrev_b32_e32 v14, 2, v14
	v_cmp_lt_i32_e32 vcc_lo, 5, v20
	v_and_or_b32 v2, 0xffe, v15, v2
	v_cmp_eq_u32_e64 s0, 3, v20
	v_and_b32_e32 v15, 0xffff, v21
	v_med3_i32 v21, v9, 0, 13
	v_mul_f64 v[9:10], v[11:12], s[4:5]
	v_or_b32_e32 v20, 0x1000, v2
	s_or_b32 vcc_lo, s0, vcc_lo
	v_add_nc_u32_e32 v18, 0xfffffc10, v18
	v_add_co_ci_u32_e32 v14, vcc_lo, 0, v14, vcc_lo
	v_lshrrev_b32_e32 v23, v21, v20
	v_cmp_ne_u32_e32 vcc_lo, 0, v13
	v_mad_u64_u32 v[11:12], null, 0xfffff31c, s8, v[5:6]
	v_lshlrev_b32_e32 v21, v21, v23
	v_cndmask_b32_e64 v13, 0, 1, vcc_lo
	v_cmp_gt_i32_e32 vcc_lo, 31, v19
	v_and_or_b32 v7, 0x1ff, v8, v7
	v_bfe_u32 v24, v8, 20, 11
	v_add_nc_u32_e32 v12, s7, v12
	v_lshl_or_b32 v13, v13, 9, 0x7c00
	v_cndmask_b32_e32 v14, 0x7c00, v14, vcc_lo
	v_cmp_ne_u32_e32 vcc_lo, v21, v20
	v_lshrrev_b32_e32 v21, 8, v8
	v_and_or_b32 v9, 0x1ff, v10, v9
	v_lshrrev_b32_e32 v25, 8, v10
	v_cndmask_b32_e64 v20, 0, 1, vcc_lo
	v_cmp_ne_u32_e32 vcc_lo, 0, v7
	v_bfe_u32 v26, v10, 20, 11
	v_or_b32_e32 v20, v23, v20
	v_cndmask_b32_e64 v7, 0, 1, vcc_lo
	v_cmp_ne_u32_e32 vcc_lo, 0, v9
	v_lshl_or_b32 v23, v18, 12, v2
	v_and_or_b32 v7, 0xffe, v21, v7
	v_sub_nc_u32_e32 v21, 0x3f1, v24
	v_cndmask_b32_e64 v9, 0, 1, vcc_lo
	v_cmp_gt_i32_e32 vcc_lo, 1, v18
	v_med3_i32 v21, v21, 0, 13
	v_and_or_b32 v9, 0xffe, v25, v9
	v_cndmask_b32_e32 v20, v23, v20, vcc_lo
	v_or_b32_e32 v23, 0x1000, v7
	v_sub_nc_u32_e32 v25, 0x3f1, v26
	v_cmp_eq_u32_e32 vcc_lo, 0x40f, v19
	v_or_b32_e32 v27, 0x1000, v9
	v_and_b32_e32 v19, 7, v20
	v_lshrrev_b32_e32 v20, 2, v20
	v_med3_i32 v25, v25, 0, 13
	v_cndmask_b32_e32 v13, v14, v13, vcc_lo
	v_lshrrev_b32_e32 v14, v21, v23
	v_cmp_lt_i32_e32 vcc_lo, 5, v19
	v_cmp_eq_u32_e64 s0, 3, v19
	v_lshrrev_b32_e32 v19, v25, v27
	v_and_or_b32 v4, 0x8000, v4, v13
	v_lshlrev_b32_e32 v21, v21, v14
	s_or_b32 vcc_lo, s0, vcc_lo
	v_add_co_ci_u32_e32 v20, vcc_lo, 0, v20, vcc_lo
	v_cmp_ne_u32_e64 s1, v21, v23
	v_add_nc_u32_e32 v23, 0xfffffc10, v24
	v_lshlrev_b32_e32 v24, v25, v19
	v_add_nc_u32_e32 v25, 0xfffffc10, v26
	v_and_b32_e32 v4, 0xffff, v4
	v_cndmask_b32_e64 v21, 0, 1, s1
	v_cmp_ne_u32_e32 vcc_lo, v24, v27
	v_or_b32_e32 v14, v14, v21
	v_lshl_or_b32 v21, v23, 12, v7
	v_cndmask_b32_e64 v24, 0, 1, vcc_lo
	v_cmp_ne_u32_e32 vcc_lo, 0, v2
	v_or_b32_e32 v19, v19, v24
	v_cndmask_b32_e64 v2, 0, 1, vcc_lo
	v_cmp_gt_i32_e32 vcc_lo, 1, v23
	v_lshl_or_b32 v2, v2, 9, 0x7c00
	v_cndmask_b32_e32 v14, v21, v14, vcc_lo
	v_cmp_gt_i32_e32 vcc_lo, 31, v18
	v_lshl_or_b32 v21, v25, 12, v9
	v_and_b32_e32 v24, 7, v14
	v_cndmask_b32_e32 v20, 0x7c00, v20, vcc_lo
	v_cmp_gt_i32_e32 vcc_lo, 1, v25
	v_cmp_eq_u32_e64 s0, 3, v24
	v_cndmask_b32_e32 v19, v21, v19, vcc_lo
	v_cmp_eq_u32_e32 vcc_lo, 0x40f, v18
	v_and_b32_e32 v13, 7, v19
	v_cndmask_b32_e32 v2, v20, v2, vcc_lo
	v_cmp_lt_i32_e32 vcc_lo, 5, v24
	v_cmp_lt_i32_e64 s1, 5, v13
	v_and_or_b32 v2, 0x8000, v3, v2
	v_lshrrev_b32_e32 v3, 2, v14
	s_or_b32 vcc_lo, s0, vcc_lo
	v_cmp_eq_u32_e64 s2, 3, v13
	v_lshrrev_b32_e32 v13, 2, v19
	v_lshl_or_b32 v4, v2, 16, v4
	v_add_co_ci_u32_e32 v3, vcc_lo, 0, v3, vcc_lo
	v_cmp_ne_u32_e32 vcc_lo, 0, v7
	v_cndmask_b32_e64 v7, 0, 1, vcc_lo
	s_or_b32 vcc_lo, s2, s1
	v_add_co_ci_u32_e32 v13, vcc_lo, 0, v13, vcc_lo
	v_cmp_ne_u32_e32 vcc_lo, 0, v9
	v_lshl_or_b32 v7, v7, 9, 0x7c00
	v_cndmask_b32_e64 v9, 0, 1, vcc_lo
	v_cmp_gt_i32_e32 vcc_lo, 31, v23
	v_lshl_or_b32 v9, v9, 9, 0x7c00
	v_cndmask_b32_e32 v3, 0x7c00, v3, vcc_lo
	v_cmp_gt_i32_e32 vcc_lo, 31, v25
	v_cndmask_b32_e32 v13, 0x7c00, v13, vcc_lo
	v_cmp_eq_u32_e32 vcc_lo, 0x40f, v23
	v_cndmask_b32_e32 v3, v3, v7, vcc_lo
	v_lshrrev_b32_e32 v7, 16, v8
	v_cmp_eq_u32_e32 vcc_lo, 0x40f, v25
	v_and_or_b32 v3, 0x8000, v7, v3
	v_cndmask_b32_e32 v8, v13, v9, vcc_lo
	v_lshrrev_b32_e32 v9, 16, v10
	v_add_co_u32 v2, vcc_lo, v11, s6
	v_lshl_or_b32 v10, v22, 16, v15
	v_and_or_b32 v7, 0x8000, v9, v8
	v_and_b32_e32 v8, 0xffff, v3
	v_add_co_ci_u32_e32 v3, vcc_lo, s3, v12, vcc_lo
	v_lshl_or_b32 v9, v7, 16, v8
	v_add_co_u32 v7, vcc_lo, v2, s6
	v_add_co_ci_u32_e32 v8, vcc_lo, s3, v3, vcc_lo
	global_store_dword v[0:1], v17, off
	global_store_dword v[5:6], v16, off
	;; [unrolled: 1-line block ×5, first 2 shown]
.LBB0_18:
	s_endpgm
	.section	.rodata,"a",@progbits
	.p2align	6, 0x0
	.amdhsa_kernel bluestein_single_back_len1485_dim1_half_op_CI_CI
		.amdhsa_group_segment_fixed_size 5940
		.amdhsa_private_segment_fixed_size 0
		.amdhsa_kernarg_size 104
		.amdhsa_user_sgpr_count 6
		.amdhsa_user_sgpr_private_segment_buffer 1
		.amdhsa_user_sgpr_dispatch_ptr 0
		.amdhsa_user_sgpr_queue_ptr 0
		.amdhsa_user_sgpr_kernarg_segment_ptr 1
		.amdhsa_user_sgpr_dispatch_id 0
		.amdhsa_user_sgpr_flat_scratch_init 0
		.amdhsa_user_sgpr_private_segment_size 0
		.amdhsa_wavefront_size32 1
		.amdhsa_uses_dynamic_stack 0
		.amdhsa_system_sgpr_private_segment_wavefront_offset 0
		.amdhsa_system_sgpr_workgroup_id_x 1
		.amdhsa_system_sgpr_workgroup_id_y 0
		.amdhsa_system_sgpr_workgroup_id_z 0
		.amdhsa_system_sgpr_workgroup_info 0
		.amdhsa_system_vgpr_workitem_id 0
		.amdhsa_next_free_vgpr 145
		.amdhsa_next_free_sgpr 20
		.amdhsa_reserve_vcc 1
		.amdhsa_reserve_flat_scratch 0
		.amdhsa_float_round_mode_32 0
		.amdhsa_float_round_mode_16_64 0
		.amdhsa_float_denorm_mode_32 3
		.amdhsa_float_denorm_mode_16_64 3
		.amdhsa_dx10_clamp 1
		.amdhsa_ieee_mode 1
		.amdhsa_fp16_overflow 0
		.amdhsa_workgroup_processor_mode 1
		.amdhsa_memory_ordered 1
		.amdhsa_forward_progress 0
		.amdhsa_shared_vgpr_count 0
		.amdhsa_exception_fp_ieee_invalid_op 0
		.amdhsa_exception_fp_denorm_src 0
		.amdhsa_exception_fp_ieee_div_zero 0
		.amdhsa_exception_fp_ieee_overflow 0
		.amdhsa_exception_fp_ieee_underflow 0
		.amdhsa_exception_fp_ieee_inexact 0
		.amdhsa_exception_int_div_zero 0
	.end_amdhsa_kernel
	.text
.Lfunc_end0:
	.size	bluestein_single_back_len1485_dim1_half_op_CI_CI, .Lfunc_end0-bluestein_single_back_len1485_dim1_half_op_CI_CI
                                        ; -- End function
	.section	.AMDGPU.csdata,"",@progbits
; Kernel info:
; codeLenInByte = 18220
; NumSgprs: 22
; NumVgprs: 145
; ScratchSize: 0
; MemoryBound: 0
; FloatMode: 240
; IeeeMode: 1
; LDSByteSize: 5940 bytes/workgroup (compile time only)
; SGPRBlocks: 2
; VGPRBlocks: 18
; NumSGPRsForWavesPerEU: 22
; NumVGPRsForWavesPerEU: 145
; Occupancy: 6
; WaveLimiterHint : 1
; COMPUTE_PGM_RSRC2:SCRATCH_EN: 0
; COMPUTE_PGM_RSRC2:USER_SGPR: 6
; COMPUTE_PGM_RSRC2:TRAP_HANDLER: 0
; COMPUTE_PGM_RSRC2:TGID_X_EN: 1
; COMPUTE_PGM_RSRC2:TGID_Y_EN: 0
; COMPUTE_PGM_RSRC2:TGID_Z_EN: 0
; COMPUTE_PGM_RSRC2:TIDIG_COMP_CNT: 0
	.text
	.p2alignl 6, 3214868480
	.fill 48, 4, 3214868480
	.type	__hip_cuid_d5971af5ed8973ed,@object ; @__hip_cuid_d5971af5ed8973ed
	.section	.bss,"aw",@nobits
	.globl	__hip_cuid_d5971af5ed8973ed
__hip_cuid_d5971af5ed8973ed:
	.byte	0                               ; 0x0
	.size	__hip_cuid_d5971af5ed8973ed, 1

	.ident	"AMD clang version 19.0.0git (https://github.com/RadeonOpenCompute/llvm-project roc-6.4.0 25133 c7fe45cf4b819c5991fe208aaa96edf142730f1d)"
	.section	".note.GNU-stack","",@progbits
	.addrsig
	.addrsig_sym __hip_cuid_d5971af5ed8973ed
	.amdgpu_metadata
---
amdhsa.kernels:
  - .args:
      - .actual_access:  read_only
        .address_space:  global
        .offset:         0
        .size:           8
        .value_kind:     global_buffer
      - .actual_access:  read_only
        .address_space:  global
        .offset:         8
        .size:           8
        .value_kind:     global_buffer
      - .actual_access:  read_only
        .address_space:  global
        .offset:         16
        .size:           8
        .value_kind:     global_buffer
      - .actual_access:  read_only
        .address_space:  global
        .offset:         24
        .size:           8
        .value_kind:     global_buffer
      - .actual_access:  read_only
        .address_space:  global
        .offset:         32
        .size:           8
        .value_kind:     global_buffer
      - .offset:         40
        .size:           8
        .value_kind:     by_value
      - .address_space:  global
        .offset:         48
        .size:           8
        .value_kind:     global_buffer
      - .address_space:  global
        .offset:         56
        .size:           8
        .value_kind:     global_buffer
      - .address_space:  global
        .offset:         64
        .size:           8
        .value_kind:     global_buffer
      - .address_space:  global
        .offset:         72
        .size:           8
        .value_kind:     global_buffer
      - .offset:         80
        .size:           4
        .value_kind:     by_value
      - .address_space:  global
        .offset:         88
        .size:           8
        .value_kind:     global_buffer
      - .address_space:  global
        .offset:         96
        .size:           8
        .value_kind:     global_buffer
    .group_segment_fixed_size: 5940
    .kernarg_segment_align: 8
    .kernarg_segment_size: 104
    .language:       OpenCL C
    .language_version:
      - 2
      - 0
    .max_flat_workgroup_size: 165
    .name:           bluestein_single_back_len1485_dim1_half_op_CI_CI
    .private_segment_fixed_size: 0
    .sgpr_count:     22
    .sgpr_spill_count: 0
    .symbol:         bluestein_single_back_len1485_dim1_half_op_CI_CI.kd
    .uniform_work_group_size: 1
    .uses_dynamic_stack: false
    .vgpr_count:     145
    .vgpr_spill_count: 0
    .wavefront_size: 32
    .workgroup_processor_mode: 1
amdhsa.target:   amdgcn-amd-amdhsa--gfx1030
amdhsa.version:
  - 1
  - 2
...

	.end_amdgpu_metadata
